;; amdgpu-corpus repo=ROCm/rocFFT kind=compiled arch=gfx1030 opt=O3
	.text
	.amdgcn_target "amdgcn-amd-amdhsa--gfx1030"
	.amdhsa_code_object_version 6
	.protected	bluestein_single_fwd_len1680_dim1_half_op_CI_CI ; -- Begin function bluestein_single_fwd_len1680_dim1_half_op_CI_CI
	.globl	bluestein_single_fwd_len1680_dim1_half_op_CI_CI
	.p2align	8
	.type	bluestein_single_fwd_len1680_dim1_half_op_CI_CI,@function
bluestein_single_fwd_len1680_dim1_half_op_CI_CI: ; @bluestein_single_fwd_len1680_dim1_half_op_CI_CI
; %bb.0:
	s_load_dwordx4 s[8:11], s[4:5], 0x28
	v_mul_u32_u24_e32 v1, 0x24a, v0
	v_mov_b32_e32 v27, 0
	s_mov_b32 s0, exec_lo
	v_lshrrev_b32_e32 v1, 16, v1
	v_add_nc_u32_e32 v26, s6, v1
	s_waitcnt lgkmcnt(0)
	v_cmpx_gt_u64_e64 s[8:9], v[26:27]
	s_cbranch_execz .LBB0_47
; %bb.1:
	s_clause 0x1
	s_load_dwordx4 s[0:3], s[4:5], 0x18
	s_load_dwordx2 s[6:7], s[4:5], 0x0
	v_mul_lo_u16 v1, 0x70, v1
	v_sub_nc_u16 v7, v0, v1
	v_and_b32_e32 v69, 0xffff, v7
	v_lshlrev_b32_e32 v56, 2, v69
	s_waitcnt lgkmcnt(0)
	s_load_dwordx4 s[12:15], s[0:1], 0x0
	v_add_co_u32 v46, s0, s6, v56
	v_add_co_ci_u32_e64 v45, null, s7, 0, s0
	v_add_nc_u32_e32 v10, 0x1200, v56
	v_add_co_u32 v24, vcc_lo, 0x800, v46
	v_add_co_ci_u32_e32 v25, vcc_lo, 0, v45, vcc_lo
	s_clause 0x1
	global_load_dword v71, v56, s[6:7]
	global_load_dword v70, v[24:25], off offset:1312
	v_add_nc_u32_e32 v12, 0x600, v56
	s_waitcnt lgkmcnt(0)
	v_mad_u64_u32 v[0:1], null, s14, v26, 0
	v_mad_u64_u32 v[2:3], null, s12, v69, 0
	s_mul_i32 s1, s13, 0x348
	s_mul_hi_u32 s9, s12, 0x348
	s_mul_i32 s0, s12, 0x348
	s_mul_i32 s14, s13, 0xfffffd28
	s_add_i32 s1, s9, s1
	s_mul_i32 s8, s12, 0xfffffd28
	v_mad_u64_u32 v[4:5], null, s15, v26, v[1:2]
	v_mad_u64_u32 v[5:6], null, s13, v69, v[3:4]
	v_mov_b32_e32 v1, v4
	s_mul_hi_u32 s13, s12, 0xfffffd28
	s_sub_i32 s9, s13, s12
	s_lshl_b64 s[12:13], s[0:1], 2
	v_lshlrev_b64 v[0:1], 2, v[0:1]
	v_mov_b32_e32 v3, v5
	s_add_i32 s9, s9, s14
	s_lshl_b64 s[0:1], s[8:9], 2
	v_lshlrev_b64 v[2:3], 2, v[2:3]
	v_add_co_u32 v0, vcc_lo, s10, v0
	v_add_co_ci_u32_e32 v1, vcc_lo, s11, v1, vcc_lo
	v_add_co_u32 v0, vcc_lo, v0, v2
	v_add_co_ci_u32_e32 v1, vcc_lo, v1, v3, vcc_lo
	;; [unrolled: 2-line block ×3, first 2 shown]
	s_clause 0x1
	global_load_dword v6, v[0:1], off
	global_load_dword v8, v[2:3], off
	v_add_co_u32 v0, vcc_lo, v2, s0
	v_add_co_ci_u32_e32 v1, vcc_lo, s1, v3, vcc_lo
	v_add_co_u32 v2, vcc_lo, v0, s12
	v_add_co_ci_u32_e32 v3, vcc_lo, s13, v1, vcc_lo
	global_load_dword v9, v[0:1], off
	v_add_co_u32 v0, vcc_lo, v2, s0
	v_add_co_ci_u32_e32 v1, vcc_lo, s1, v3, vcc_lo
	s_clause 0x3
	global_load_dword v68, v56, s[6:7] offset:448
	global_load_dword v66, v56, s[6:7] offset:896
	;; [unrolled: 1-line block ×3, first 2 shown]
	global_load_dword v67, v[24:25], off offset:1760
	s_clause 0x1
	global_load_dword v11, v[2:3], off
	global_load_dword v13, v[0:1], off
	v_add_co_u32 v0, vcc_lo, v0, s12
	v_add_co_ci_u32_e32 v1, vcc_lo, s13, v1, vcc_lo
	v_add_co_u32 v2, vcc_lo, 0x1000, v46
	v_add_co_ci_u32_e32 v3, vcc_lo, 0, v45, vcc_lo
	global_load_dword v14, v[0:1], off
	v_add_co_u32 v0, vcc_lo, v0, s0
	v_add_co_ci_u32_e32 v1, vcc_lo, s1, v1, vcc_lo
	global_load_dword v65, v[2:3], off offset:160
	v_add_co_u32 v4, vcc_lo, v0, s12
	v_add_co_ci_u32_e32 v5, vcc_lo, s13, v1, vcc_lo
	global_load_dword v15, v[0:1], off
	v_add_co_u32 v0, vcc_lo, v4, s0
	v_add_co_ci_u32_e32 v1, vcc_lo, s1, v5, vcc_lo
	global_load_dword v62, v56, s[6:7] offset:1792
	global_load_dword v16, v[4:5], off
	s_clause 0x1
	global_load_dword v63, v[2:3], off offset:608
	global_load_dword v61, v[2:3], off offset:1056
	global_load_dword v17, v[0:1], off
	v_add_co_u32 v0, vcc_lo, v0, s12
	v_add_co_ci_u32_e32 v1, vcc_lo, s13, v1, vcc_lo
	global_load_dword v60, v[24:25], off offset:192
	v_add_co_u32 v4, vcc_lo, v0, s0
	v_add_co_ci_u32_e32 v5, vcc_lo, s1, v1, vcc_lo
	global_load_dword v18, v[0:1], off
	v_add_co_u32 v0, vcc_lo, v4, s12
	v_add_co_ci_u32_e32 v1, vcc_lo, s13, v5, vcc_lo
	global_load_dword v19, v[4:5], off
	;; [unrolled: 3-line block ×3, first 2 shown]
	v_add_co_u32 v0, vcc_lo, v4, s12
	v_add_co_ci_u32_e32 v1, vcc_lo, s13, v5, vcc_lo
	global_load_dword v59, v[2:3], off offset:1504
	global_load_dword v21, v[4:5], off
	global_load_dword v22, v[0:1], off
	s_clause 0x1
	global_load_dword v58, v[24:25], off offset:640
	global_load_dword v57, v[2:3], off offset:1952
	s_load_dwordx2 s[6:7], s[4:5], 0x38
	s_load_dwordx4 s[8:11], s[2:3], 0x0
	v_add_nc_u32_e32 v5, 0xe00, v56
	v_add_nc_u32_e32 v4, 0x200, v56
	v_cmp_gt_u16_e32 vcc_lo, 56, v7
	s_waitcnt vmcnt(25)
	v_lshrrev_b32_e32 v2, 16, v6
	v_mul_f16_sdwa v3, v71, v6 dst_sel:DWORD dst_unused:UNUSED_PAD src0_sel:WORD_1 src1_sel:DWORD
	s_waitcnt vmcnt(24)
	v_lshrrev_b32_e32 v27, 16, v8
	v_mul_f16_sdwa v28, v70, v8 dst_sel:DWORD dst_unused:UNUSED_PAD src0_sel:WORD_1 src1_sel:DWORD
	v_mul_f16_sdwa v23, v71, v2 dst_sel:DWORD dst_unused:UNUSED_PAD src0_sel:WORD_1 src1_sel:DWORD
	v_fma_f16 v2, v71, v2, -v3
	v_mul_f16_sdwa v3, v70, v27 dst_sel:DWORD dst_unused:UNUSED_PAD src0_sel:WORD_1 src1_sel:DWORD
	v_fma_f16 v27, v70, v27, -v28
	v_fmac_f16_e32 v23, v71, v6
	s_waitcnt vmcnt(23)
	v_lshrrev_b32_e32 v6, 16, v9
	s_waitcnt vmcnt(22)
	v_mul_f16_sdwa v28, v68, v9 dst_sel:DWORD dst_unused:UNUSED_PAD src0_sel:WORD_1 src1_sel:DWORD
	v_pack_b32_f16 v2, v23, v2
	v_fmac_f16_e32 v3, v70, v8
	s_waitcnt vmcnt(18)
	v_lshrrev_b32_e32 v23, 16, v11
	v_mul_f16_sdwa v8, v68, v6 dst_sel:DWORD dst_unused:UNUSED_PAD src0_sel:WORD_1 src1_sel:DWORD
	v_mul_f16_sdwa v29, v67, v11 dst_sel:DWORD dst_unused:UNUSED_PAD src0_sel:WORD_1 src1_sel:DWORD
	v_fma_f16 v6, v68, v6, -v28
	v_pack_b32_f16 v3, v3, v27
	s_waitcnt vmcnt(17)
	v_lshrrev_b32_e32 v27, 16, v13
	v_fmac_f16_e32 v8, v68, v9
	v_mul_f16_sdwa v9, v67, v23 dst_sel:DWORD dst_unused:UNUSED_PAD src0_sel:WORD_1 src1_sel:DWORD
	v_fma_f16 v23, v67, v23, -v29
	v_mul_f16_sdwa v28, v66, v13 dst_sel:DWORD dst_unused:UNUSED_PAD src0_sel:WORD_1 src1_sel:DWORD
	ds_write_b32 v56, v3 offset:3360
	v_pack_b32_f16 v3, v8, v6
	v_fmac_f16_e32 v9, v67, v11
	v_mul_f16_sdwa v6, v66, v27 dst_sel:DWORD dst_unused:UNUSED_PAD src0_sel:WORD_1 src1_sel:DWORD
	s_waitcnt vmcnt(16)
	v_lshrrev_b32_e32 v11, 16, v14
	v_fma_f16 v8, v66, v27, -v28
	s_waitcnt vmcnt(15)
	v_mul_f16_sdwa v27, v65, v14 dst_sel:DWORD dst_unused:UNUSED_PAD src0_sel:WORD_1 src1_sel:DWORD
	ds_write2_b32 v56, v2, v3 offset1:112
	v_pack_b32_f16 v2, v9, v23
	v_fmac_f16_e32 v6, v66, v13
	v_mul_f16_sdwa v3, v65, v11 dst_sel:DWORD dst_unused:UNUSED_PAD src0_sel:WORD_1 src1_sel:DWORD
	s_waitcnt vmcnt(14)
	v_lshrrev_b32_e32 v9, 16, v15
	v_fma_f16 v11, v65, v11, -v27
	v_mul_f16_sdwa v13, v64, v15 dst_sel:DWORD dst_unused:UNUSED_PAD src0_sel:WORD_1 src1_sel:DWORD
	v_pack_b32_f16 v6, v6, v8
	v_fmac_f16_e32 v3, v65, v14
	v_mul_f16_sdwa v8, v64, v9 dst_sel:DWORD dst_unused:UNUSED_PAD src0_sel:WORD_1 src1_sel:DWORD
	s_waitcnt vmcnt(12)
	v_lshrrev_b32_e32 v14, 16, v16
	s_waitcnt vmcnt(11)
	v_mul_f16_sdwa v23, v63, v16 dst_sel:DWORD dst_unused:UNUSED_PAD src0_sel:WORD_1 src1_sel:DWORD
	v_fma_f16 v9, v64, v9, -v13
	v_pack_b32_f16 v3, v3, v11
	v_fmac_f16_e32 v8, v64, v15
	v_mul_f16_sdwa v11, v63, v14 dst_sel:DWORD dst_unused:UNUSED_PAD src0_sel:WORD_1 src1_sel:DWORD
	v_fma_f16 v13, v63, v14, -v23
	s_waitcnt vmcnt(9)
	v_lshrrev_b32_e32 v14, 16, v17
	v_mul_f16_sdwa v15, v62, v17 dst_sel:DWORD dst_unused:UNUSED_PAD src0_sel:WORD_1 src1_sel:DWORD
	ds_write2_b32 v5, v2, v3 offset0:56 offset1:168
	v_pack_b32_f16 v2, v8, v9
	v_fmac_f16_e32 v11, v63, v16
	v_mul_f16_sdwa v3, v62, v14 dst_sel:DWORD dst_unused:UNUSED_PAD src0_sel:WORD_1 src1_sel:DWORD
	v_fma_f16 v8, v62, v14, -v15
	s_waitcnt vmcnt(7)
	v_lshrrev_b32_e32 v9, 16, v18
	v_mul_f16_sdwa v14, v61, v18 dst_sel:DWORD dst_unused:UNUSED_PAD src0_sel:WORD_1 src1_sel:DWORD
	ds_write2_b32 v4, v6, v2 offset0:96 offset1:208
	v_pack_b32_f16 v2, v11, v13
	v_fmac_f16_e32 v3, v62, v17
	s_waitcnt vmcnt(6)
	v_lshrrev_b32_e32 v6, 16, v19
	v_mul_f16_sdwa v13, v60, v19 dst_sel:DWORD dst_unused:UNUSED_PAD src0_sel:WORD_1 src1_sel:DWORD
	v_mul_f16_sdwa v11, v61, v9 dst_sel:DWORD dst_unused:UNUSED_PAD src0_sel:WORD_1 src1_sel:DWORD
	v_fma_f16 v9, v61, v9, -v14
	s_waitcnt vmcnt(5)
	v_lshrrev_b32_e32 v14, 16, v20
	v_pack_b32_f16 v3, v3, v8
	v_mul_f16_sdwa v8, v60, v6 dst_sel:DWORD dst_unused:UNUSED_PAD src0_sel:WORD_1 src1_sel:DWORD
	v_fma_f16 v6, v60, v6, -v13
	s_waitcnt vmcnt(4)
	v_mul_f16_sdwa v13, v59, v20 dst_sel:DWORD dst_unused:UNUSED_PAD src0_sel:WORD_1 src1_sel:DWORD
	s_waitcnt vmcnt(3)
	v_lshrrev_b32_e32 v15, 16, v21
	s_waitcnt vmcnt(2)
	v_lshrrev_b32_e32 v17, 16, v22
	v_mul_f16_sdwa v16, v59, v14 dst_sel:DWORD dst_unused:UNUSED_PAD src0_sel:WORD_1 src1_sel:DWORD
	v_fmac_f16_e32 v11, v61, v18
	v_fma_f16 v13, v59, v14, -v13
	s_waitcnt vmcnt(1)
	v_mul_f16_sdwa v14, v58, v21 dst_sel:DWORD dst_unused:UNUSED_PAD src0_sel:WORD_1 src1_sel:DWORD
	v_mul_f16_sdwa v18, v58, v15 dst_sel:DWORD dst_unused:UNUSED_PAD src0_sel:WORD_1 src1_sel:DWORD
	v_fmac_f16_e32 v8, v60, v19
	s_waitcnt vmcnt(0)
	v_mul_f16_sdwa v19, v57, v22 dst_sel:DWORD dst_unused:UNUSED_PAD src0_sel:WORD_1 src1_sel:DWORD
	v_mul_f16_sdwa v23, v57, v17 dst_sel:DWORD dst_unused:UNUSED_PAD src0_sel:WORD_1 src1_sel:DWORD
	v_fmac_f16_e32 v16, v59, v20
	v_fma_f16 v14, v58, v15, -v14
	v_fmac_f16_e32 v18, v58, v21
	v_fma_f16 v15, v57, v17, -v19
	v_fmac_f16_e32 v23, v57, v22
	v_pack_b32_f16 v9, v11, v9
	v_pack_b32_f16 v6, v8, v6
	;; [unrolled: 1-line block ×3, first 2 shown]
	v_add_nc_u32_e32 v13, 0x1400, v56
	v_pack_b32_f16 v11, v18, v14
	v_pack_b32_f16 v14, v23, v15
	ds_write2_b32 v10, v2, v9 offset0:24 offset1:136
	ds_write2_b32 v12, v3, v6 offset0:64 offset1:176
	ds_write_b32 v56, v11 offset:2688
	ds_write2_b32 v13, v8, v14 offset0:120 offset1:232
	s_and_saveexec_b32 s2, vcc_lo
	s_cbranch_execz .LBB0_3
; %bb.2:
	v_add_co_u32 v0, s0, v0, s0
	v_add_co_ci_u32_e64 v1, s0, s1, v1, s0
	v_add_co_u32 v2, s0, v0, s12
	v_add_co_ci_u32_e64 v3, s0, s13, v1, s0
	global_load_dword v6, v[0:1], off
	global_load_dword v2, v[2:3], off
	v_add_co_u32 v0, s0, 0x1800, v46
	v_add_co_ci_u32_e64 v1, s0, 0, v45, s0
	s_clause 0x1
	global_load_dword v3, v[24:25], off offset:1088
	global_load_dword v0, v[0:1], off offset:352
	s_waitcnt vmcnt(3)
	v_lshrrev_b32_e32 v1, 16, v6
	s_waitcnt vmcnt(2)
	v_lshrrev_b32_e32 v7, 16, v2
	s_waitcnt vmcnt(1)
	v_mul_f16_sdwa v8, v3, v6 dst_sel:DWORD dst_unused:UNUSED_PAD src0_sel:WORD_1 src1_sel:DWORD
	v_mul_f16_sdwa v9, v3, v1 dst_sel:DWORD dst_unused:UNUSED_PAD src0_sel:WORD_1 src1_sel:DWORD
	s_waitcnt vmcnt(0)
	v_mul_f16_sdwa v11, v0, v7 dst_sel:DWORD dst_unused:UNUSED_PAD src0_sel:WORD_1 src1_sel:DWORD
	v_mul_f16_sdwa v14, v0, v2 dst_sel:DWORD dst_unused:UNUSED_PAD src0_sel:WORD_1 src1_sel:DWORD
	v_fma_f16 v1, v3, v1, -v8
	v_fmac_f16_e32 v9, v3, v6
	v_fmac_f16_e32 v11, v0, v2
	v_fma_f16 v0, v0, v7, -v14
	v_pack_b32_f16 v1, v9, v1
	v_pack_b32_f16 v0, v11, v0
	ds_write_b32 v56, v1 offset:3136
	ds_write_b32 v56, v0 offset:6496
.LBB0_3:
	s_or_b32 exec_lo, exec_lo, s2
	v_add_nc_u32_e32 v0, 0xa00, v56
	s_waitcnt lgkmcnt(0)
	s_barrier
	buffer_gl0_inv
	ds_read2_b32 v[8:9], v56 offset1:112
	ds_read2_b32 v[2:3], v0 offset0:32 offset1:200
	ds_read2_b32 v[0:1], v5 offset0:56 offset1:168
	;; [unrolled: 1-line block ×6, first 2 shown]
                                        ; implicit-def: $vgpr14
                                        ; implicit-def: $vgpr15
	s_and_saveexec_b32 s0, vcc_lo
	s_cbranch_execz .LBB0_5
; %bb.4:
	ds_read_b32 v14, v56 offset:3136
	ds_read_b32 v15, v56 offset:6496
.LBB0_5:
	s_or_b32 exec_lo, exec_lo, s0
	s_load_dwordx2 s[2:3], s[4:5], 0x8
	v_add_co_u32 v44, s0, 0x70, v69
	s_waitcnt lgkmcnt(0)
	v_pk_add_f16 v20, v8, v3 neg_lo:[0,1] neg_hi:[0,1]
	v_pk_add_f16 v22, v9, v0 neg_lo:[0,1] neg_hi:[0,1]
	v_lshlrev_b32_e32 v18, 1, v69
	v_pk_add_f16 v28, v6, v1 neg_lo:[0,1] neg_hi:[0,1]
	v_pk_add_f16 v1, v14, v15 neg_lo:[0,1] neg_hi:[0,1]
	;; [unrolled: 1-line block ×3, first 2 shown]
	v_add_co_ci_u32_e64 v16, null, 0, 0, s0
	v_add_co_u32 v43, null, 0xe0, v69
	v_add_co_u32 v17, null, 0x150, v69
	;; [unrolled: 1-line block ×4, first 2 shown]
	v_lshlrev_b32_e32 v76, 3, v69
	v_pk_fma_f16 v19, v8, 2.0, v20 op_sel_hi:[1,0,1] neg_lo:[0,0,1] neg_hi:[0,0,1]
	v_lshlrev_b32_e32 v78, 3, v44
	v_pk_fma_f16 v21, v9, 2.0, v22 op_sel_hi:[1,0,1] neg_lo:[0,0,1] neg_hi:[0,0,1]
	v_pk_add_f16 v10, v7, v10 neg_lo:[0,1] neg_hi:[0,1]
	v_pk_add_f16 v12, v5, v12 neg_lo:[0,1] neg_hi:[0,1]
	;; [unrolled: 1-line block ×3, first 2 shown]
	v_pk_fma_f16 v0, v14, 2.0, v1 op_sel_hi:[1,0,1] neg_lo:[0,0,1] neg_hi:[0,0,1]
	v_pk_fma_f16 v14, v4, 2.0, v15 op_sel_hi:[1,0,1] neg_lo:[0,0,1] neg_hi:[0,0,1]
	v_lshlrev_b32_e32 v4, 2, v18
	s_barrier
	buffer_gl0_inv
	ds_write_b64 v76, v[19:20]
	v_lshlrev_b32_e32 v20, 1, v44
	ds_write_b64 v78, v[21:22]
	v_lshlrev_b32_e32 v19, 1, v43
	v_lshlrev_b32_e32 v75, 3, v43
	v_pk_fma_f16 v27, v6, 2.0, v28 op_sel_hi:[1,0,1] neg_lo:[0,0,1] neg_hi:[0,0,1]
	v_lshlrev_b32_e32 v21, 1, v17
	v_lshlrev_b32_e32 v77, 3, v17
	;; [unrolled: 1-line block ×4, first 2 shown]
	v_add_nc_u32_e32 v91, 0x460, v18
	v_add_nc_u32_e32 v92, 0x540, v18
	v_lshlrev_b32_e32 v81, 3, v23
	v_pk_fma_f16 v9, v7, 2.0, v10 op_sel_hi:[1,0,1] neg_lo:[0,0,1] neg_hi:[0,0,1]
	v_pk_fma_f16 v11, v5, 2.0, v12 op_sel_hi:[1,0,1] neg_lo:[0,0,1] neg_hi:[0,0,1]
	;; [unrolled: 1-line block ×3, first 2 shown]
	v_add_nc_u32_e32 v4, 0x1000, v4
	ds_write_b64 v75, v[27:28]
	ds_write_b64 v77, v[9:10]
	;; [unrolled: 1-line block ×3, first 2 shown]
	ds_write2_b64 v4, v[11:12], v[2:3] offset0:48 offset1:160
	s_and_saveexec_b32 s0, vcc_lo
	s_cbranch_execz .LBB0_7
; %bb.6:
	ds_write_b64 v81, v[0:1]
.LBB0_7:
	s_or_b32 exec_lo, exec_lo, s0
	v_add_nc_u32_e32 v6, 0xe00, v56
	v_add_nc_u32_e32 v2, 0xa00, v56
	;; [unrolled: 1-line block ×6, first 2 shown]
	s_waitcnt lgkmcnt(0)
	s_barrier
	buffer_gl0_inv
	ds_read2_b32 v[4:5], v56 offset1:112
	ds_read2_b32 v[2:3], v2 offset0:32 offset1:200
	ds_read2_b32 v[14:15], v6 offset0:56 offset1:168
	;; [unrolled: 1-line block ×6, first 2 shown]
	s_and_saveexec_b32 s0, vcc_lo
	s_cbranch_execz .LBB0_9
; %bb.8:
	ds_read_b32 v0, v56 offset:3136
	ds_read_b32 v1, v56 offset:6496
.LBB0_9:
	s_or_b32 exec_lo, exec_lo, s0
	v_and_b32_e32 v72, 1, v69
	v_lshlrev_b32_e32 v55, 1, v23
	s_waitcnt lgkmcnt(4)
	v_lshrrev_b32_e32 v30, 16, v14
	v_lshrrev_b32_e32 v32, 16, v15
	s_waitcnt lgkmcnt(2)
	v_lshrrev_b32_e32 v34, 16, v12
	v_lshlrev_b32_e32 v27, 2, v72
	v_and_or_b32 v23, 0xfc, v18, v72
	v_and_or_b32 v47, 0x1fc, v20, v72
	;; [unrolled: 1-line block ×4, first 2 shown]
	global_load_dword v73, v27, s[2:3]
	v_lshrrev_b32_e32 v27, 16, v3
	v_and_or_b32 v50, 0x7fc, v22, v72
	v_and_or_b32 v51, 0x5fc, v91, v72
	;; [unrolled: 1-line block ×3, first 2 shown]
	v_lshrrev_b32_e32 v36, 16, v13
	s_waitcnt lgkmcnt(0)
	v_lshrrev_b32_e32 v38, 16, v10
	v_lshrrev_b32_e32 v40, 16, v11
	;; [unrolled: 1-line block ×3, first 2 shown]
	v_lshlrev_b32_e32 v87, 2, v23
	v_lshlrev_b32_e32 v88, 2, v47
	;; [unrolled: 1-line block ×7, first 2 shown]
	v_lshrrev_b32_e32 v28, 16, v4
	v_lshrrev_b32_e32 v29, 16, v5
	;; [unrolled: 1-line block ×8, first 2 shown]
	s_waitcnt vmcnt(0)
	s_barrier
	buffer_gl0_inv
	v_mul_f16_sdwa v23, v27, v73 dst_sel:DWORD dst_unused:UNUSED_PAD src0_sel:DWORD src1_sel:WORD_1
	v_mul_f16_sdwa v47, v3, v73 dst_sel:DWORD dst_unused:UNUSED_PAD src0_sel:DWORD src1_sel:WORD_1
	;; [unrolled: 1-line block ×16, first 2 shown]
	v_fmac_f16_e32 v47, v27, v73
	v_fma_f16 v3, v3, v73, -v23
	v_fma_f16 v14, v14, v73, -v48
	v_fmac_f16_e32 v49, v30, v73
	v_fma_f16 v15, v15, v73, -v50
	v_fmac_f16_e32 v51, v32, v73
	v_fmac_f16_e32 v53, v34, v73
	v_fma_f16 v12, v12, v73, -v52
	v_fma_f16 v13, v13, v73, -v54
	v_fmac_f16_e32 v74, v36, v73
	v_fma_f16 v10, v10, v73, -v80
	v_fmac_f16_e32 v89, v38, v73
	;; [unrolled: 2-line block ×4, first 2 shown]
	v_sub_f16_e32 v3, v4, v3
	v_sub_f16_e32 v30, v28, v47
	;; [unrolled: 1-line block ×16, first 2 shown]
	v_fma_f16 v1, v4, 2.0, -v3
	v_fma_f16 v4, v28, 2.0, -v30
	v_fma_f16 v5, v5, 2.0, -v32
	v_fma_f16 v28, v29, 2.0, -v34
	v_fma_f16 v8, v8, 2.0, -v36
	v_fma_f16 v29, v31, 2.0, -v38
	v_fma_f16 v9, v9, 2.0, -v12
	v_fma_f16 v31, v33, 2.0, -v40
	v_fma_f16 v6, v6, 2.0, -v13
	v_fma_f16 v33, v35, 2.0, -v41
	v_fma_f16 v7, v7, 2.0, -v10
	v_fma_f16 v35, v37, 2.0, -v47
	v_fma_f16 v2, v2, 2.0, -v11
	v_fma_f16 v37, v39, 2.0, -v48
	v_fma_f16 v14, v0, 2.0, -v23
	v_fma_f16 v15, v42, 2.0, -v27
	v_pack_b32_f16 v0, v3, v30
	v_pack_b32_f16 v1, v1, v4
	;; [unrolled: 1-line block ×14, first 2 shown]
	ds_write2_b32 v87, v1, v0 offset1:2
	ds_write2_b32 v88, v4, v3 offset1:2
	;; [unrolled: 1-line block ×7, first 2 shown]
	s_and_saveexec_b32 s0, vcc_lo
	s_cbranch_execz .LBB0_11
; %bb.10:
	v_and_or_b32 v0, 0x6fc, v55, v72
	v_perm_b32 v1, v15, v14, 0x5040100
	v_perm_b32 v2, v27, v23, 0x5040100
	v_lshlrev_b32_e32 v0, 2, v0
	ds_write2_b32 v0, v1, v2 offset1:2
.LBB0_11:
	s_or_b32 exec_lo, exec_lo, s0
	v_add_nc_u32_e32 v4, 0xe00, v56
	v_add_nc_u32_e32 v0, 0xa00, v56
	;; [unrolled: 1-line block ×6, first 2 shown]
	s_waitcnt lgkmcnt(0)
	s_barrier
	buffer_gl0_inv
	ds_read2_b32 v[2:3], v56 offset1:112
	ds_read2_b32 v[0:1], v0 offset0:32 offset1:200
	ds_read2_b32 v[12:13], v4 offset0:56 offset1:168
	;; [unrolled: 1-line block ×6, first 2 shown]
	s_and_saveexec_b32 s0, vcc_lo
	s_cbranch_execz .LBB0_13
; %bb.12:
	ds_read_b32 v14, v56 offset:3136
	ds_read_b32 v23, v56 offset:6496
	s_waitcnt lgkmcnt(1)
	v_lshrrev_b32_e32 v15, 16, v14
	s_waitcnt lgkmcnt(0)
	v_lshrrev_b32_e32 v27, 16, v23
.LBB0_13:
	s_or_b32 exec_lo, exec_lo, s0
	v_and_b32_e32 v74, 3, v69
	s_waitcnt lgkmcnt(5)
	v_lshrrev_b32_e32 v29, 16, v1
	s_waitcnt lgkmcnt(4)
	v_lshrrev_b32_e32 v31, 16, v12
	v_lshrrev_b32_e32 v33, 16, v13
	s_waitcnt lgkmcnt(2)
	v_lshrrev_b32_e32 v35, 16, v10
	v_lshlrev_b32_e32 v28, 2, v74
	v_and_or_b32 v42, 0xf8, v18, v74
	v_and_or_b32 v47, 0x1f8, v20, v74
	;; [unrolled: 1-line block ×4, first 2 shown]
	global_load_dword v89, v28, s[2:3] offset:8
	v_and_or_b32 v50, 0x7f8, v22, v74
	v_and_or_b32 v51, 0x5f8, v91, v74
	;; [unrolled: 1-line block ×3, first 2 shown]
	v_lshrrev_b32_e32 v37, 16, v11
	s_waitcnt lgkmcnt(0)
	v_lshrrev_b32_e32 v39, 16, v8
	v_lshrrev_b32_e32 v41, 16, v9
	v_lshlrev_b32_e32 v98, 2, v42
	v_lshlrev_b32_e32 v99, 2, v47
	;; [unrolled: 1-line block ×7, first 2 shown]
	v_lshrrev_b32_e32 v28, 16, v2
	v_lshrrev_b32_e32 v30, 16, v3
	;; [unrolled: 1-line block ×7, first 2 shown]
	s_waitcnt vmcnt(0)
	s_barrier
	buffer_gl0_inv
	v_mul_f16_sdwa v42, v29, v89 dst_sel:DWORD dst_unused:UNUSED_PAD src0_sel:DWORD src1_sel:WORD_1
	v_mul_f16_sdwa v47, v1, v89 dst_sel:DWORD dst_unused:UNUSED_PAD src0_sel:DWORD src1_sel:WORD_1
	;; [unrolled: 1-line block ×16, first 2 shown]
	v_fma_f16 v1, v1, v89, -v42
	v_fmac_f16_e32 v47, v29, v89
	v_fma_f16 v12, v12, v89, -v48
	v_fmac_f16_e32 v49, v31, v89
	;; [unrolled: 2-line block ×8, first 2 shown]
	v_sub_f16_e32 v1, v2, v1
	v_sub_f16_e32 v29, v28, v47
	;; [unrolled: 1-line block ×16, first 2 shown]
	v_fma_f16 v2, v2, 2.0, -v1
	v_fma_f16 v28, v28, 2.0, -v29
	;; [unrolled: 1-line block ×16, first 2 shown]
	v_pack_b32_f16 v1, v1, v29
	v_pack_b32_f16 v2, v2, v28
	;; [unrolled: 1-line block ×14, first 2 shown]
	ds_write2_b32 v98, v2, v1 offset1:4
	ds_write2_b32 v99, v3, v12 offset1:4
	;; [unrolled: 1-line block ×7, first 2 shown]
	s_and_saveexec_b32 s0, vcc_lo
	s_cbranch_execz .LBB0_15
; %bb.14:
	v_and_or_b32 v0, 0x6f8, v55, v74
	v_perm_b32 v1, v15, v14, 0x5040100
	v_perm_b32 v2, v27, v23, 0x5040100
	v_lshlrev_b32_e32 v0, 2, v0
	ds_write2_b32 v0, v1, v2 offset1:4
.LBB0_15:
	s_or_b32 exec_lo, exec_lo, s0
	v_add_nc_u32_e32 v4, 0xe00, v56
	v_add_nc_u32_e32 v0, 0xa00, v56
	;; [unrolled: 1-line block ×6, first 2 shown]
	s_waitcnt lgkmcnt(0)
	s_barrier
	buffer_gl0_inv
	ds_read2_b32 v[2:3], v56 offset1:112
	ds_read2_b32 v[0:1], v0 offset0:32 offset1:200
	ds_read2_b32 v[12:13], v4 offset0:56 offset1:168
	;; [unrolled: 1-line block ×6, first 2 shown]
	s_and_saveexec_b32 s0, vcc_lo
	s_cbranch_execz .LBB0_17
; %bb.16:
	ds_read_b32 v14, v56 offset:3136
	ds_read_b32 v23, v56 offset:6496
	s_waitcnt lgkmcnt(1)
	v_lshrrev_b32_e32 v15, 16, v14
	s_waitcnt lgkmcnt(0)
	v_lshrrev_b32_e32 v27, 16, v23
.LBB0_17:
	s_or_b32 exec_lo, exec_lo, s0
	v_and_b32_e32 v90, 7, v69
	s_waitcnt lgkmcnt(5)
	v_lshrrev_b32_e32 v29, 16, v1
	s_waitcnt lgkmcnt(4)
	v_lshrrev_b32_e32 v31, 16, v12
	v_lshrrev_b32_e32 v33, 16, v13
	s_waitcnt lgkmcnt(2)
	v_lshrrev_b32_e32 v35, 16, v10
	v_lshlrev_b32_e32 v28, 2, v90
	v_and_or_b32 v18, 0xf0, v18, v90
	v_and_or_b32 v19, 0x3f0, v19, v90
	;; [unrolled: 1-line block ×4, first 2 shown]
	global_load_dword v100, v28, s[2:3] offset:24
	v_and_or_b32 v22, 0x7f0, v22, v90
	v_and_or_b32 v42, 0x5f0, v91, v90
	;; [unrolled: 1-line block ×3, first 2 shown]
	v_lshrrev_b32_e32 v37, 16, v11
	s_waitcnt lgkmcnt(0)
	v_lshrrev_b32_e32 v39, 16, v8
	v_lshrrev_b32_e32 v41, 16, v9
	v_lshlrev_b32_e32 v106, 2, v18
	v_lshlrev_b32_e32 v101, 2, v19
	;; [unrolled: 1-line block ×7, first 2 shown]
	v_lshrrev_b32_e32 v28, 16, v2
	v_lshrrev_b32_e32 v30, 16, v3
	;; [unrolled: 1-line block ×7, first 2 shown]
	s_waitcnt vmcnt(0)
	s_barrier
	buffer_gl0_inv
	v_mul_f16_sdwa v18, v29, v100 dst_sel:DWORD dst_unused:UNUSED_PAD src0_sel:DWORD src1_sel:WORD_1
	v_mul_f16_sdwa v19, v1, v100 dst_sel:DWORD dst_unused:UNUSED_PAD src0_sel:DWORD src1_sel:WORD_1
	;; [unrolled: 1-line block ×15, first 2 shown]
	v_fma_f16 v1, v1, v100, -v18
	v_fmac_f16_e32 v19, v29, v100
	v_fma_f16 v12, v12, v100, -v20
	v_fmac_f16_e32 v21, v31, v100
	;; [unrolled: 2-line block ×4, first 2 shown]
	v_mul_f16_sdwa v108, v23, v100 dst_sel:DWORD dst_unused:UNUSED_PAD src0_sel:DWORD src1_sel:WORD_1
	v_fma_f16 v11, v11, v100, -v49
	v_fmac_f16_e32 v50, v37, v100
	v_fma_f16 v8, v8, v100, -v51
	v_fmac_f16_e32 v52, v39, v100
	;; [unrolled: 2-line block ×3, first 2 shown]
	v_fma_f16 v18, v23, v100, -v80
	v_sub_f16_e32 v1, v2, v1
	v_sub_f16_e32 v19, v28, v19
	;; [unrolled: 1-line block ×8, first 2 shown]
	v_fmac_f16_e32 v108, v27, v100
	v_sub_f16_e32 v11, v4, v11
	v_sub_f16_e32 v27, v36, v50
	;; [unrolled: 1-line block ×7, first 2 shown]
	v_fma_f16 v2, v2, 2.0, -v1
	v_fma_f16 v18, v28, 2.0, -v19
	;; [unrolled: 1-line block ×10, first 2 shown]
	v_sub_f16_e32 v47, v15, v108
	v_fma_f16 v5, v5, 2.0, -v8
	v_fma_f16 v34, v38, 2.0, -v29
	;; [unrolled: 1-line block ×4, first 2 shown]
	v_pack_b32_f16 v1, v1, v19
	v_pack_b32_f16 v2, v2, v18
	;; [unrolled: 1-line block ×14, first 2 shown]
	ds_write2_b32 v106, v2, v1 offset1:8
	ds_write2_b32 v107, v3, v19 offset1:8
	;; [unrolled: 1-line block ×7, first 2 shown]
	s_and_saveexec_b32 s0, vcc_lo
	s_cbranch_execz .LBB0_19
; %bb.18:
	v_fma_f16 v0, v14, 2.0, -v12
	v_and_or_b32 v1, 0x6f0, v55, v90
	v_fma_f16 v2, v15, 2.0, -v47
	v_lshlrev_b32_e32 v1, 2, v1
	v_pack_b32_f16 v0, v0, v2
	v_perm_b32 v2, v47, v12, 0x5040100
	ds_write2_b32 v1, v0, v2 offset1:8
.LBB0_19:
	s_or_b32 exec_lo, exec_lo, s0
	v_and_b32_e32 v15, 15, v69
	s_waitcnt lgkmcnt(0)
	s_barrier
	buffer_gl0_inv
	v_add_nc_u32_e32 v18, 0x600, v56
	v_lshlrev_b32_e32 v0, 3, v15
	v_add_nc_u32_e32 v2, 0x1000, v56
	v_add_nc_u32_e32 v19, 0xa00, v56
	;; [unrolled: 1-line block ×4, first 2 shown]
	global_load_dwordx2 v[31:32], v0, s[2:3] offset:56
	v_add_nc_u32_e32 v10, 0xc00, v56
	ds_read2_b32 v[0:1], v56 offset1:112
	ds_read_b32 v21, v56 offset:6272
	ds_read2_b32 v[13:14], v18 offset0:64 offset1:176
	ds_read2_b32 v[2:3], v2 offset0:96 offset1:208
	;; [unrolled: 1-line block ×6, first 2 shown]
	v_lshrrev_b32_e32 v22, 4, v69
	v_lshrrev_b32_e32 v23, 4, v44
	;; [unrolled: 1-line block ×5, first 2 shown]
	v_mul_u32_u24_e32 v22, 48, v22
	v_mul_u32_u24_e32 v23, 48, v23
	;; [unrolled: 1-line block ×5, first 2 shown]
	v_or_b32_e32 v22, v22, v15
	v_or_b32_e32 v23, v23, v15
	v_or_b32_e32 v27, v27, v15
	v_or_b32_e32 v17, v17, v15
	v_or_b32_e32 v15, v16, v15
	v_lshlrev_b32_e32 v112, 2, v22
	v_lshlrev_b32_e32 v111, 2, v23
	s_waitcnt lgkmcnt(5)
	v_lshrrev_b32_e32 v22, 16, v14
	s_waitcnt lgkmcnt(4)
	v_lshrrev_b32_e32 v23, 16, v2
	v_lshlrev_b32_e32 v110, 2, v27
	s_waitcnt lgkmcnt(3)
	v_lshrrev_b32_e32 v27, 16, v4
	v_lshrrev_b32_e32 v28, 16, v3
	v_lshlrev_b32_e32 v109, 2, v17
	v_lshrrev_b32_e32 v17, 16, v21
	v_lshrrev_b32_e32 v35, 16, v5
	s_waitcnt lgkmcnt(1)
	v_lshrrev_b32_e32 v36, 16, v8
	s_waitcnt lgkmcnt(0)
	v_lshrrev_b32_e32 v40, 16, v11
	v_lshrrev_b32_e32 v38, 16, v10
	;; [unrolled: 1-line block ×3, first 2 shown]
	v_lshlrev_b32_e32 v108, 2, v15
	v_lshrrev_b32_e32 v15, 16, v0
	v_lshrrev_b32_e32 v16, 16, v1
	;; [unrolled: 1-line block ×5, first 2 shown]
	v_add_nc_u32_e32 v29, 0xe00, v56
	v_add_nc_u32_e32 v30, 0x1200, v56
	;; [unrolled: 1-line block ×3, first 2 shown]
	s_waitcnt vmcnt(0)
	s_barrier
	buffer_gl0_inv
	v_cmp_gt_u16_e64 s0, 16, v69
	v_mul_f16_sdwa v41, v22, v31 dst_sel:DWORD dst_unused:UNUSED_PAD src0_sel:DWORD src1_sel:WORD_1
	v_mul_f16_sdwa v42, v14, v31 dst_sel:DWORD dst_unused:UNUSED_PAD src0_sel:DWORD src1_sel:WORD_1
	;; [unrolled: 1-line block ×20, first 2 shown]
	v_fma_f16 v14, v14, v31, -v41
	v_fmac_f16_e32 v42, v22, v31
	v_fma_f16 v2, v2, v32, -v49
	v_fmac_f16_e32 v50, v23, v32
	;; [unrolled: 2-line block ×6, first 2 shown]
	v_fmac_f16_e32 v117, v38, v31
	v_fmac_f16_e32 v119, v39, v32
	v_fma_f16 v11, v11, v31, -v120
	v_fmac_f16_e32 v121, v40, v31
	v_fma_f16 v21, v21, v32, -v122
	;; [unrolled: 2-line block ×3, first 2 shown]
	v_fma_f16 v9, v9, v32, -v118
	v_add_f16_e32 v22, v14, v2
	v_add_f16_e32 v28, v42, v50
	;; [unrolled: 1-line block ×4, first 2 shown]
	v_sub_f16_e32 v23, v42, v50
	v_add_f16_e32 v27, v15, v42
	v_sub_f16_e32 v38, v52, v54
	v_add_f16_e32 v39, v16, v52
	v_add_f16_e32 v42, v5, v8
	;; [unrolled: 1-line block ×5, first 2 shown]
	v_sub_f16_e32 v120, v121, v123
	v_add_f16_e32 v122, v48, v121
	v_add_f16_e32 v121, v121, v123
	;; [unrolled: 1-line block ×3, first 2 shown]
	v_sub_f16_e32 v14, v14, v2
	v_add_f16_e32 v80, v10, v9
	v_fma_f16 v0, -0.5, v22, v0
	v_fmac_f16_e32 v15, -0.5, v28
	v_add_f16_e32 v35, v1, v4
	v_sub_f16_e32 v4, v4, v3
	v_fmac_f16_e32 v1, -0.5, v36
	v_fmac_f16_e32 v16, -0.5, v40
	v_add_f16_e32 v41, v6, v5
	v_sub_f16_e32 v49, v113, v115
	v_add_f16_e32 v51, v34, v113
	v_sub_f16_e32 v5, v5, v8
	;; [unrolled: 2-line block ×5, first 2 shown]
	v_fma_f16 v6, -0.5, v42, v6
	v_fmac_f16_e32 v34, -0.5, v52
	v_fmac_f16_e32 v37, -0.5, v116
	;; [unrolled: 1-line block ×4, first 2 shown]
	v_add_f16_e32 v2, v17, v2
	v_add_f16_e32 v17, v27, v50
	v_fmac_f16_e32 v7, -0.5, v80
	v_fmamk_f16 v36, v23, 0x3aee, v0
	v_fmac_f16_e32 v0, 0xbaee, v23
	v_fmamk_f16 v23, v14, 0xbaee, v15
	v_fmac_f16_e32 v15, 0x3aee, v14
	v_add_f16_e32 v3, v35, v3
	v_add_f16_e32 v22, v39, v54
	v_fmamk_f16 v14, v38, 0x3aee, v1
	v_fmac_f16_e32 v1, 0xbaee, v38
	v_fmamk_f16 v38, v4, 0xbaee, v16
	v_fmac_f16_e32 v16, 0x3aee, v4
	v_add_f16_e32 v8, v41, v8
	v_add_f16_e32 v27, v51, v115
	v_fmamk_f16 v4, v49, 0x3aee, v6
	v_fmamk_f16 v39, v5, 0xbaee, v34
	;; [unrolled: 1-line block ×3, first 2 shown]
	v_fmac_f16_e32 v37, 0x3aee, v10
	v_fmamk_f16 v10, v120, 0x3aee, v13
	v_fmac_f16_e32 v13, 0xbaee, v120
	v_fmamk_f16 v41, v11, 0xbaee, v48
	v_fmac_f16_e32 v48, 0x3aee, v11
	v_add_f16_e32 v9, v53, v9
	v_add_f16_e32 v28, v114, v119
	;; [unrolled: 1-line block ×4, first 2 shown]
	v_fmac_f16_e32 v6, 0xbaee, v49
	v_fmac_f16_e32 v34, 0x3aee, v5
	v_fmamk_f16 v5, v113, 0x3aee, v7
	v_fmac_f16_e32 v7, 0xbaee, v113
	v_pack_b32_f16 v2, v2, v17
	v_pack_b32_f16 v17, v36, v23
	;; [unrolled: 1-line block ×15, first 2 shown]
	ds_write2_b32 v112, v2, v17 offset1:16
	ds_write_b32 v112, v0 offset:128
	ds_write2_b32 v111, v3, v14 offset1:16
	ds_write_b32 v111, v1 offset:128
	;; [unrolled: 2-line block ×5, first 2 shown]
	s_waitcnt lgkmcnt(0)
	s_barrier
	buffer_gl0_inv
	ds_read2_b32 v[14:15], v56 offset1:112
	ds_read2_b32 v[37:38], v20 offset0:112 offset1:224
	ds_read2_b32 v[27:28], v18 offset0:96 offset1:208
	ds_read2_b32 v[22:23], v19 offset0:80 offset1:192
	ds_read2_b32 v[20:21], v29 offset0:64 offset1:176
	ds_read2_b32 v[18:19], v30 offset0:48 offset1:160
	ds_read2_b32 v[16:17], v33 offset0:32 offset1:144
                                        ; implicit-def: $vgpr42
                                        ; implicit-def: $vgpr51
                                        ; implicit-def: $vgpr40
                                        ; implicit-def: $vgpr52
                                        ; implicit-def: $vgpr49
                                        ; implicit-def: $vgpr50
                                        ; implicit-def: $vgpr53
                                        ; implicit-def: $vgpr54
	s_and_saveexec_b32 s1, s0
	s_cbranch_execz .LBB0_21
; %bb.20:
	v_add_nc_u32_e32 v0, 0x380, v56
	v_add_nc_u32_e32 v1, 0xb00, v56
	;; [unrolled: 1-line block ×3, first 2 shown]
	ds_read_b32 v49, v56 offset:6656
	ds_read2_b32 v[11:12], v0 offset1:240
	ds_read2_b32 v[41:42], v1 offset1:240
	;; [unrolled: 1-line block ×3, first 2 shown]
	s_waitcnt lgkmcnt(3)
	v_lshrrev_b32_e32 v50, 16, v49
	s_waitcnt lgkmcnt(2)
	v_lshrrev_b32_e32 v48, 16, v11
	v_lshrrev_b32_e32 v47, 16, v12
	s_waitcnt lgkmcnt(1)
	v_lshrrev_b32_e32 v54, 16, v41
	;; [unrolled: 3-line block ×3, first 2 shown]
	v_lshrrev_b32_e32 v52, 16, v40
	v_mov_b32_e32 v13, v11
.LBB0_21:
	s_or_b32 exec_lo, exec_lo, s1
	v_and_b32_e32 v0, 0xff, v69
	v_mov_b32_e32 v2, 0xaaab
	v_mov_b32_e32 v122, 0x150
	s_waitcnt lgkmcnt(5)
	v_lshrrev_b32_e32 v117, 16, v37
	s_waitcnt lgkmcnt(4)
	v_lshrrev_b32_e32 v118, 16, v27
	v_mul_lo_u16 v0, 0xab, v0
	s_waitcnt lgkmcnt(1)
	v_lshrrev_b32_e32 v121, 16, v18
	s_waitcnt lgkmcnt(0)
	v_lshrrev_b32_e32 v123, 16, v16
	v_lshrrev_b32_e32 v119, 16, v22
	;; [unrolled: 1-line block ×3, first 2 shown]
	v_lshrrev_b16 v113, 13, v0
	v_and_b32_e32 v0, 0xff, v44
	v_lshrrev_b32_e32 v124, 16, v38
	v_lshrrev_b32_e32 v125, 16, v28
	;; [unrolled: 1-line block ×3, first 2 shown]
	v_mul_lo_u16 v1, v113, 48
	v_mul_lo_u16 v0, 0xab, v0
	v_mul_u32_u24_sdwa v113, v113, v122 dst_sel:DWORD dst_unused:UNUSED_PAD src0_sel:WORD_0 src1_sel:DWORD
	v_lshrrev_b32_e32 v129, 16, v17
	v_lshrrev_b32_e32 v126, 16, v23
	v_sub_nc_u16 v1, v69, v1
	v_lshrrev_b16 v114, 13, v0
	v_mul_u32_u24_sdwa v0, v43, v2 dst_sel:DWORD dst_unused:UNUSED_PAD src0_sel:WORD_0 src1_sel:DWORD
	v_lshrrev_b32_e32 v127, 16, v21
	v_and_b32_e32 v115, 0xff, v1
	v_mul_lo_u16 v2, v114, 48
	v_lshrrev_b32_e32 v3, 21, v0
	v_mul_u32_u24_sdwa v122, v114, v122 dst_sel:DWORD dst_unused:UNUSED_PAD src0_sel:WORD_0 src1_sel:DWORD
	v_mad_u64_u32 v[0:1], null, v115, 24, s[2:3]
	v_mul_lo_u16 v3, v3, 48
	v_sub_nc_u16 v2, v44, v2
	v_add_lshl_u32 v114, v113, v115, 2
	v_sub_nc_u16 v80, v43, v3
	v_and_b32_e32 v116, 0xff, v2
	s_clause 0x1
	global_load_dwordx4 v[8:11], v[0:1], off offset:184
	global_load_dwordx2 v[35:36], v[0:1], off offset:200
	v_mul_lo_u16 v4, v80, 24
	v_mad_u64_u32 v[2:3], null, v116, 24, s[2:3]
	v_add_lshl_u32 v113, v122, v116, 2
	v_and_b32_e32 v0, 0xffff, v4
	global_load_dwordx4 v[4:7], v[2:3], off offset:184
	v_add_co_u32 v29, s1, s2, v0
	v_add_co_ci_u32_e64 v30, null, s3, 0, s1
	s_clause 0x2
	global_load_dwordx2 v[33:34], v[2:3], off offset:200
	global_load_dwordx4 v[0:3], v[29:30], off offset:184
	global_load_dwordx2 v[29:30], v[29:30], off offset:200
	s_waitcnt vmcnt(0)
	s_barrier
	buffer_gl0_inv
	v_mul_f16_sdwa v115, v117, v8 dst_sel:DWORD dst_unused:UNUSED_PAD src0_sel:DWORD src1_sel:WORD_1
	v_mul_f16_sdwa v116, v37, v8 dst_sel:DWORD dst_unused:UNUSED_PAD src0_sel:DWORD src1_sel:WORD_1
	;; [unrolled: 1-line block ×36, first 2 shown]
	v_fma_f16 v37, v37, v8, -v115
	v_fmac_f16_e32 v116, v117, v8
	v_fma_f16 v27, v27, v9, -v122
	v_fmac_f16_e32 v130, v118, v9
	;; [unrolled: 2-line block ×18, first 2 shown]
	v_add_f16_e32 v49, v37, v16
	v_add_f16_e32 v50, v116, v138
	;; [unrolled: 1-line block ×4, first 2 shown]
	v_sub_f16_e32 v16, v37, v16
	v_sub_f16_e32 v37, v116, v138
	;; [unrolled: 1-line block ×4, first 2 shown]
	v_add_f16_e32 v53, v22, v20
	v_add_f16_e32 v54, v132, v134
	v_sub_f16_e32 v20, v20, v22
	v_sub_f16_e32 v22, v134, v132
	v_add_f16_e32 v115, v38, v17
	v_add_f16_e32 v116, v140, v150
	;; [unrolled: 1-line block ×4, first 2 shown]
	v_sub_f16_e32 v17, v38, v17
	v_sub_f16_e32 v38, v140, v150
	;; [unrolled: 1-line block ×4, first 2 shown]
	v_add_f16_e32 v119, v23, v21
	v_add_f16_e32 v120, v144, v146
	v_sub_f16_e32 v21, v21, v23
	v_sub_f16_e32 v23, v146, v144
	v_add_f16_e32 v121, v12, v47
	v_add_f16_e32 v122, v152, v162
	v_sub_f16_e32 v12, v12, v47
	v_sub_f16_e32 v47, v152, v162
	;; [unrolled: 4-line block ×3, first 2 shown]
	v_add_f16_e32 v125, v42, v39
	v_sub_f16_e32 v39, v39, v42
	v_sub_f16_e32 v42, v158, v156
	v_add_f16_e32 v127, v51, v49
	v_add_f16_e32 v128, v52, v50
	v_sub_f16_e32 v129, v51, v49
	v_sub_f16_e32 v130, v52, v50
	;; [unrolled: 1-line block ×6, first 2 shown]
	v_add_f16_e32 v131, v20, v18
	v_add_f16_e32 v132, v22, v27
	v_sub_f16_e32 v133, v20, v18
	v_sub_f16_e32 v134, v22, v27
	;; [unrolled: 1-line block ×4, first 2 shown]
	v_add_f16_e32 v135, v117, v115
	v_add_f16_e32 v136, v118, v116
	;; [unrolled: 1-line block ×3, first 2 shown]
	v_sub_f16_e32 v137, v117, v115
	v_sub_f16_e32 v138, v118, v116
	;; [unrolled: 1-line block ×6, first 2 shown]
	v_add_f16_e32 v139, v21, v19
	v_add_f16_e32 v140, v23, v28
	v_sub_f16_e32 v141, v21, v19
	v_sub_f16_e32 v142, v23, v28
	;; [unrolled: 1-line block ×4, first 2 shown]
	v_add_f16_e32 v143, v123, v121
	v_add_f16_e32 v144, v124, v122
	;; [unrolled: 1-line block ×4, first 2 shown]
	v_sub_f16_e32 v149, v39, v40
	v_sub_f16_e32 v150, v42, v41
	;; [unrolled: 1-line block ×4, first 2 shown]
	v_add_f16_e32 v53, v53, v127
	v_add_f16_e32 v54, v54, v128
	v_sub_f16_e32 v20, v16, v20
	v_sub_f16_e32 v22, v37, v22
	v_add_f16_e32 v16, v131, v16
	v_add_f16_e32 v37, v132, v37
	v_mul_f16_e32 v49, 0x3a52, v49
	v_mul_f16_e32 v50, 0x3a52, v50
	;; [unrolled: 1-line block ×8, first 2 shown]
	v_add_f16_e32 v119, v119, v135
	v_add_f16_e32 v120, v120, v136
	v_sub_f16_e32 v21, v17, v21
	v_sub_f16_e32 v23, v38, v23
	;; [unrolled: 1-line block ×10, first 2 shown]
	v_add_f16_e32 v17, v139, v17
	v_add_f16_e32 v38, v140, v38
	v_mul_f16_e32 v115, 0x3a52, v115
	v_mul_f16_e32 v116, 0x3a52, v116
	v_mul_f16_e32 v135, 0x2b26, v117
	v_mul_f16_e32 v136, 0x2b26, v118
	v_mul_f16_e32 v139, 0xb846, v141
	v_mul_f16_e32 v140, 0xb846, v142
	v_mul_f16_e32 v141, 0x3b00, v19
	v_mul_f16_e32 v142, 0x3b00, v28
	v_add_f16_e32 v125, v125, v143
	v_add_f16_e32 v126, v126, v144
	;; [unrolled: 1-line block ×3, first 2 shown]
	v_mul_f16_e32 v148, 0xb846, v149
	v_mul_f16_e32 v149, 0xb846, v150
	;; [unrolled: 1-line block ×4, first 2 shown]
	v_add_f16_e32 v152, v14, v53
	v_add_f16_sdwa v14, v14, v54 dst_sel:DWORD dst_unused:UNUSED_PAD src0_sel:WORD_1 src1_sel:DWORD
	v_fmamk_f16 v51, v51, 0x2b26, v49
	v_fmamk_f16 v52, v52, 0x2b26, v50
	v_fma_f16 v127, v129, 0x39e0, -v127
	v_fma_f16 v128, v130, 0x39e0, -v128
	;; [unrolled: 1-line block ×4, first 2 shown]
	v_fmamk_f16 v129, v20, 0x3574, v131
	v_fmamk_f16 v130, v22, 0x3574, v132
	v_fma_f16 v18, v18, 0x3b00, -v131
	v_fma_f16 v27, v27, 0x3b00, -v132
	;; [unrolled: 1-line block ×4, first 2 shown]
	v_add_f16_e32 v131, v15, v119
	v_add_f16_sdwa v15, v15, v120 dst_sel:DWORD dst_unused:UNUSED_PAD src0_sel:WORD_1 src1_sel:DWORD
	v_add_f16_e32 v143, v147, v12
	v_mul_f16_e32 v121, 0x3a52, v121
	v_mul_f16_e32 v122, 0x3a52, v122
	;; [unrolled: 1-line block ×4, first 2 shown]
	v_fmamk_f16 v117, v117, 0x2b26, v115
	v_fmamk_f16 v118, v118, 0x2b26, v116
	v_fma_f16 v132, v137, 0x39e0, -v135
	v_fma_f16 v133, v138, 0x39e0, -v136
	;; [unrolled: 1-line block ×4, first 2 shown]
	v_fmamk_f16 v134, v21, 0x3574, v139
	v_fmamk_f16 v135, v23, 0x3574, v140
	v_fma_f16 v19, v19, 0x3b00, -v139
	v_fma_f16 v28, v28, 0x3b00, -v140
	;; [unrolled: 1-line block ×4, first 2 shown]
	v_add_f16_e32 v12, v13, v125
	v_add_f16_e32 v13, v48, v126
	v_fmamk_f16 v137, v39, 0x3574, v148
	v_fmamk_f16 v138, v42, 0x3574, v149
	v_fma_f16 v41, v41, 0x3b00, -v149
	v_fma_f16 v139, v39, 0xb574, -v150
	;; [unrolled: 1-line block ×3, first 2 shown]
	v_fmamk_f16 v39, v53, 0xbcab, v152
	v_fmamk_f16 v53, v54, 0xbcab, v14
	v_fmac_f16_e32 v129, 0x370e, v16
	v_fmac_f16_e32 v130, 0x370e, v37
	;; [unrolled: 1-line block ×6, first 2 shown]
	v_fmamk_f16 v16, v119, 0xbcab, v131
	v_fmamk_f16 v37, v120, 0xbcab, v15
	;; [unrolled: 1-line block ×4, first 2 shown]
	v_fma_f16 v124, v145, 0x39e0, -v144
	v_fma_f16 v136, v146, 0x39e0, -v147
	;; [unrolled: 1-line block ×5, first 2 shown]
	v_fmac_f16_e32 v134, 0x370e, v17
	v_fmac_f16_e32 v135, 0x370e, v38
	;; [unrolled: 1-line block ×6, first 2 shown]
	v_fmamk_f16 v17, v125, 0xbcab, v12
	v_fmamk_f16 v38, v126, 0xbcab, v13
	v_fmac_f16_e32 v138, 0x370e, v47
	v_fmac_f16_e32 v41, 0x370e, v47
	;; [unrolled: 1-line block ×3, first 2 shown]
	v_add_f16_e32 v47, v51, v39
	v_add_f16_e32 v51, v52, v53
	;; [unrolled: 1-line block ×8, first 2 shown]
	v_fmac_f16_e32 v137, 0x370e, v143
	v_fmac_f16_e32 v40, 0x370e, v143
	v_fmac_f16_e32 v139, 0x370e, v143
	v_add_f16_e32 v117, v132, v16
	v_add_f16_e32 v118, v133, v37
	;; [unrolled: 1-line block ×11, first 2 shown]
	v_sub_f16_e32 v126, v51, v129
	v_pack_b32_f16 v15, v131, v15
	v_add_f16_e32 v127, v22, v39
	v_sub_f16_e32 v128, v49, v20
	v_sub_f16_e32 v131, v52, v27
	v_add_f16_e32 v132, v18, v54
	v_add_f16_e32 v27, v27, v52
	v_sub_f16_e32 v18, v54, v18
	v_sub_f16_e32 v22, v39, v22
	v_add_f16_e32 v20, v20, v49
	v_sub_f16_e32 v47, v47, v130
	v_add_f16_e32 v49, v129, v51
	v_add_f16_e32 v51, v135, v50
	v_sub_f16_e32 v52, v53, v134
	v_pack_b32_f16 v14, v152, v14
	v_add_f16_e32 v54, v23, v16
	v_sub_f16_e32 v129, v37, v21
	v_sub_f16_e32 v130, v117, v28
	v_add_f16_e32 v133, v19, v118
	v_add_f16_e32 v28, v28, v117
	v_sub_f16_e32 v19, v118, v19
	v_sub_f16_e32 v16, v16, v23
	v_add_f16_e32 v21, v21, v37
	v_sub_f16_e32 v23, v50, v135
	v_add_f16_e32 v50, v134, v53
	v_add_f16_e32 v121, v138, v48
	v_sub_f16_e32 v122, v120, v137
	v_add_f16_e32 v37, v42, v17
	v_sub_f16_e32 v116, v124, v139
	v_sub_f16_e32 v38, v119, v41
	v_add_f16_e32 v115, v40, v123
	v_add_f16_e32 v39, v41, v119
	v_sub_f16_e32 v117, v123, v40
	v_sub_f16_e32 v40, v17, v42
	v_add_f16_e32 v118, v139, v124
	v_sub_f16_e32 v119, v48, v138
	v_add_f16_e32 v120, v137, v120
	v_pack_b32_f16 v17, v125, v126
	v_pack_b32_f16 v41, v127, v128
	;; [unrolled: 1-line block ×12, first 2 shown]
	ds_write2_b32 v114, v14, v17 offset1:48
	ds_write2_b32 v114, v41, v42 offset0:96 offset1:144
	ds_write2_b32 v114, v18, v20 offset0:192 offset1:240
	ds_write_b32 v114, v22 offset:1152
	ds_write2_b32 v113, v15, v27 offset1:48
	ds_write2_b32 v113, v47, v48 offset0:96 offset1:144
	ds_write2_b32 v113, v19, v16 offset0:192 offset1:240
	ds_write_b32 v113, v21 offset:1152
	s_and_saveexec_b32 s1, s0
	s_cbranch_execz .LBB0_23
; %bb.22:
	v_mov_b32_e32 v14, 2
	v_perm_b32 v12, v13, v12, 0x5040100
	v_perm_b32 v15, v116, v37, 0x5040100
	v_perm_b32 v16, v115, v38, 0x5040100
	v_perm_b32 v17, v117, v39, 0x5040100
	v_lshlrev_b32_sdwa v13, v14, v80 dst_sel:DWORD dst_unused:UNUSED_PAD src0_sel:DWORD src1_sel:WORD_0
	v_perm_b32 v14, v122, v121, 0x5040100
	v_perm_b32 v19, v118, v40, 0x5040100
	;; [unrolled: 1-line block ×3, first 2 shown]
	v_add_nc_u32_e32 v18, 0x1400, v13
	v_add_nc_u32_e32 v20, 0x1800, v13
	ds_write2_b32 v18, v12, v14 offset0:64 offset1:112
	ds_write2_b32 v18, v15, v16 offset0:160 offset1:208
	ds_write2_b32 v20, v17, v19 offset1:48
	ds_write_b32 v13, v21 offset:6528
.LBB0_23:
	s_or_b32 exec_lo, exec_lo, s1
	v_lshlrev_b32_e32 v12, 4, v69
	s_waitcnt lgkmcnt(0)
	s_barrier
	buffer_gl0_inv
	v_add_nc_u32_e32 v49, 0x200, v56
	global_load_dwordx4 v[20:23], v12, s[2:3] offset:1336
	v_lshlrev_b32_e32 v12, 4, v44
	v_add_nc_u32_e32 v50, 0xa00, v56
	v_add_nc_u32_e32 v47, 0xc00, v56
	;; [unrolled: 1-line block ×3, first 2 shown]
	ds_read2_b32 v[41:42], v56 offset1:112
	global_load_dwordx4 v[16:19], v12, s[2:3] offset:1336
	v_lshlrev_b32_e32 v12, 4, v43
	v_add_nc_u32_e32 v52, 0x600, v56
	v_add_nc_u32_e32 v48, 0x1000, v56
	v_add_co_u32 v27, s1, 0x1800, v46
	global_load_dwordx4 v[12:15], v12, s[2:3] offset:1336
	ds_read_b32 v131, v56 offset:6272
	ds_read2_b32 v[43:44], v49 offset0:96 offset1:208
	ds_read2_b32 v[53:54], v50 offset0:32 offset1:144
	;; [unrolled: 1-line block ×6, first 2 shown]
	v_add_co_ci_u32_e64 v28, s1, 0, v45, s1
	s_waitcnt lgkmcnt(7)
	v_lshrrev_b32_e32 v132, 16, v41
	v_lshrrev_b32_e32 v133, 16, v42
	s_waitcnt lgkmcnt(6)
	v_lshrrev_b32_e32 v134, 16, v131
	s_waitcnt lgkmcnt(5)
	;; [unrolled: 2-line block ×6, first 2 shown]
	v_lshrrev_b32_e32 v139, 16, v127
	v_lshrrev_b32_e32 v140, 16, v54
	s_waitcnt lgkmcnt(0)
	v_lshrrev_b32_e32 v141, 16, v129
	v_lshrrev_b32_e32 v142, 16, v126
	;; [unrolled: 1-line block ×6, first 2 shown]
	s_waitcnt vmcnt(2)
	v_mul_f16_sdwa v147, v135, v20 dst_sel:DWORD dst_unused:UNUSED_PAD src0_sel:DWORD src1_sel:WORD_1
	v_mul_f16_sdwa v148, v44, v20 dst_sel:DWORD dst_unused:UNUSED_PAD src0_sel:DWORD src1_sel:WORD_1
	v_mul_f16_sdwa v149, v136, v21 dst_sel:DWORD dst_unused:UNUSED_PAD src0_sel:DWORD src1_sel:WORD_1
	v_mul_f16_sdwa v150, v53, v21 dst_sel:DWORD dst_unused:UNUSED_PAD src0_sel:DWORD src1_sel:WORD_1
	v_mul_f16_sdwa v151, v137, v22 dst_sel:DWORD dst_unused:UNUSED_PAD src0_sel:DWORD src1_sel:WORD_1
	v_mul_f16_sdwa v152, v124, v22 dst_sel:DWORD dst_unused:UNUSED_PAD src0_sel:DWORD src1_sel:WORD_1
	v_mul_f16_sdwa v153, v138, v23 dst_sel:DWORD dst_unused:UNUSED_PAD src0_sel:DWORD src1_sel:WORD_1
	v_mul_f16_sdwa v154, v125, v23 dst_sel:DWORD dst_unused:UNUSED_PAD src0_sel:DWORD src1_sel:WORD_1
	s_waitcnt vmcnt(1)
	v_mul_f16_sdwa v155, v139, v16 dst_sel:DWORD dst_unused:UNUSED_PAD src0_sel:DWORD src1_sel:WORD_1
	v_mul_f16_sdwa v156, v127, v16 dst_sel:DWORD dst_unused:UNUSED_PAD src0_sel:DWORD src1_sel:WORD_1
	v_mul_f16_sdwa v157, v140, v17 dst_sel:DWORD dst_unused:UNUSED_PAD src0_sel:DWORD src1_sel:WORD_1
	v_mul_f16_sdwa v158, v54, v17 dst_sel:DWORD dst_unused:UNUSED_PAD src0_sel:DWORD src1_sel:WORD_1
	v_mul_f16_sdwa v159, v141, v18 dst_sel:DWORD dst_unused:UNUSED_PAD src0_sel:DWORD src1_sel:WORD_1
	v_mul_f16_sdwa v160, v129, v18 dst_sel:DWORD dst_unused:UNUSED_PAD src0_sel:DWORD src1_sel:WORD_1
	v_mul_f16_sdwa v161, v142, v19 dst_sel:DWORD dst_unused:UNUSED_PAD src0_sel:DWORD src1_sel:WORD_1
	v_mul_f16_sdwa v162, v126, v19 dst_sel:DWORD dst_unused:UNUSED_PAD src0_sel:DWORD src1_sel:WORD_1
	;; [unrolled: 9-line block ×3, first 2 shown]
	v_fma_f16 v44, v44, v20, -v147
	v_fmac_f16_e32 v148, v135, v20
	v_fma_f16 v53, v53, v21, -v149
	v_fmac_f16_e32 v150, v136, v21
	;; [unrolled: 2-line block ×12, first 2 shown]
	v_add_f16_e32 v131, v41, v44
	v_add_f16_e32 v134, v53, v135
	v_sub_f16_e32 v138, v44, v53
	v_sub_f16_e32 v139, v125, v135
	v_add_f16_e32 v140, v44, v125
	v_add_f16_e32 v144, v132, v148
	;; [unrolled: 1-line block ×4, first 2 shown]
	v_sub_f16_e32 v136, v148, v154
	v_sub_f16_e32 v141, v53, v44
	;; [unrolled: 1-line block ×7, first 2 shown]
	v_add_f16_e32 v155, v42, v124
	v_add_f16_e32 v157, v54, v127
	;; [unrolled: 1-line block ×4, first 2 shown]
	v_sub_f16_e32 v44, v44, v125
	v_sub_f16_e32 v146, v53, v135
	;; [unrolled: 1-line block ×3, first 2 shown]
	v_add_f16_e32 v167, v124, v126
	v_sub_f16_e32 v169, v54, v124
	v_sub_f16_e32 v174, v124, v126
	;; [unrolled: 1-line block ×4, first 2 shown]
	v_add_f16_e32 v177, v156, v162
	v_add_f16_e32 v179, v43, v128
	v_add_f16_e32 v180, v123, v129
	v_add_f16_e32 v185, v128, v130
	v_add_f16_e32 v188, v143, v164
	v_add_f16_e32 v189, v166, v168
	v_add_f16_e32 v193, v164, v170
	v_add_f16_e32 v53, v131, v53
	v_fma_f16 v131, -0.5, v134, v41
	v_add_f16_e32 v134, v138, v139
	v_fma_f16 v41, -0.5, v140, v41
	v_add_f16_e32 v139, v144, v150
	v_fma_f16 v140, -0.5, v145, v132
	v_sub_f16_e32 v137, v150, v152
	v_sub_f16_e32 v165, v126, v127
	;; [unrolled: 1-line block ×6, first 2 shown]
	v_fmac_f16_e32 v132, -0.5, v151
	v_sub_f16_e32 v159, v156, v162
	v_sub_f16_e32 v175, v54, v127
	v_add_f16_e32 v138, v141, v142
	v_add_f16_e32 v141, v147, v149
	;; [unrolled: 1-line block ×4, first 2 shown]
	v_fma_f16 v144, -0.5, v157, v42
	v_add_f16_e32 v148, v172, v158
	v_fma_f16 v149, -0.5, v173, v133
	v_sub_f16_e32 v161, v158, v160
	v_sub_f16_e32 v171, v127, v126
	;; [unrolled: 1-line block ×7, first 2 shown]
	v_fmac_f16_e32 v42, -0.5, v167
	v_add_f16_e32 v150, v124, v176
	v_fmac_f16_e32 v133, -0.5, v177
	v_add_f16_e32 v153, v179, v123
	v_fma_f16 v123, -0.5, v180, v43
	v_fmac_f16_e32 v43, -0.5, v185
	v_add_f16_e32 v157, v188, v166
	v_fma_f16 v124, -0.5, v189, v143
	v_fmac_f16_e32 v143, -0.5, v193
	v_add_f16_e32 v53, v53, v135
	v_fmamk_f16 v135, v136, 0x3b9c, v131
	v_add_f16_e32 v139, v139, v152
	v_fmamk_f16 v152, v44, 0xbb9c, v140
	v_add_f16_e32 v145, v163, v165
	v_add_f16_e32 v163, v164, v194
	v_fmamk_f16 v164, v137, 0xbb9c, v41
	v_fmamk_f16 v165, v146, 0x3b9c, v132
	v_fmac_f16_e32 v41, 0x3b9c, v137
	v_fmac_f16_e32 v132, 0xbb9c, v146
	;; [unrolled: 1-line block ×4, first 2 shown]
	v_sub_f16_e32 v178, v160, v162
	v_add_f16_e32 v54, v54, v127
	v_fmamk_f16 v127, v159, 0x3b9c, v144
	v_add_f16_e32 v148, v148, v160
	v_fmamk_f16 v160, v174, 0xbb9c, v149
	v_sub_f16_e32 v156, v158, v156
	v_sub_f16_e32 v184, v130, v129
	;; [unrolled: 1-line block ×4, first 2 shown]
	v_add_f16_e32 v147, v169, v171
	v_fmac_f16_e32 v144, 0xbb9c, v159
	v_fmamk_f16 v166, v161, 0xbb9c, v42
	v_fmac_f16_e32 v42, 0x3b9c, v161
	v_fmac_f16_e32 v149, 0x3b9c, v174
	v_fmamk_f16 v167, v175, 0x3b9c, v133
	v_fmac_f16_e32 v133, 0xbb9c, v175
	v_add_f16_e32 v129, v153, v129
	v_fmamk_f16 v153, v181, 0x3b9c, v123
	v_fmac_f16_e32 v123, 0xbb9c, v181
	v_fmamk_f16 v169, v182, 0xbb9c, v43
	v_fmac_f16_e32 v43, 0x3b9c, v182
	v_add_f16_e32 v157, v157, v168
	v_fmamk_f16 v168, v128, 0xbb9c, v124
	v_fmac_f16_e32 v124, 0x3b9c, v128
	v_fmamk_f16 v171, v190, 0x3b9c, v143
	v_fmac_f16_e32 v143, 0xbb9c, v190
	v_fmac_f16_e32 v135, 0x38b4, v137
	;; [unrolled: 1-line block ×11, first 2 shown]
	v_add_f16_e32 v151, v156, v178
	v_add_f16_e32 v155, v183, v184
	;; [unrolled: 1-line block ×6, first 2 shown]
	v_fmac_f16_e32 v144, 0xb8b4, v161
	v_fmac_f16_e32 v166, 0x38b4, v159
	;; [unrolled: 1-line block ×16, first 2 shown]
	v_add_f16_e32 v44, v54, v126
	v_add_f16_e32 v54, v148, v162
	;; [unrolled: 1-line block ×4, first 2 shown]
	v_fmac_f16_e32 v164, 0x34f2, v138
	v_fmac_f16_e32 v165, 0x34f2, v142
	;; [unrolled: 1-line block ×22, first 2 shown]
	v_pack_b32_f16 v53, v53, v125
	v_pack_b32_f16 v125, v135, v152
	;; [unrolled: 1-line block ×15, first 2 shown]
	ds_write_b32 v56, v125 offset:1344
	ds_write_b32 v56, v126 offset:2688
	;; [unrolled: 1-line block ×4, first 2 shown]
	ds_write2_b32 v56, v53, v44 offset1:112
	ds_write_b32 v56, v129 offset:3136
	ds_write_b32 v56, v42 offset:4480
	;; [unrolled: 1-line block ×4, first 2 shown]
	ds_write2_b32 v52, v127, v131 offset0:64 offset1:176
	ds_write_b32 v56, v132 offset:3584
	ds_write_b32 v56, v43 offset:4928
	;; [unrolled: 1-line block ×3, first 2 shown]
	s_waitcnt lgkmcnt(0)
	s_barrier
	buffer_gl0_inv
	global_load_dword v127, v[27:28], off offset:576
	v_add_co_u32 v41, s1, 0x1a40, v46
	v_add_co_ci_u32_e64 v42, s1, 0, v45, s1
	v_add_co_u32 v43, s1, 0x2000, v46
	v_add_co_u32 v53, s2, 0x2800, v46
	global_load_dword v133, v[41:42], off offset:448
	v_add_co_ci_u32_e64 v44, s1, 0, v45, s1
	v_add_co_ci_u32_e64 v54, s1, 0, v45, s2
	v_add_co_u32 v125, s1, 0x3000, v46
	s_clause 0x4
	global_load_dword v134, v[43:44], off offset:1888
	global_load_dword v135, v[53:54], off offset:288
	global_load_dword v136, v[41:42], off offset:896
	global_load_dword v137, v[53:54], off offset:736
	global_load_dword v138, v[41:42], off offset:1344
	v_add_co_ci_u32_e64 v126, s1, 0, v45, s1
	s_clause 0x6
	global_load_dword v139, v[53:54], off offset:1184
	global_load_dword v140, v[41:42], off offset:1792
	;; [unrolled: 1-line block ×7, first 2 shown]
	ds_read2_b32 v[44:45], v56 offset1:112
	v_add_nc_u32_e32 v148, 0x800, v56
	s_waitcnt lgkmcnt(0)
	v_lshrrev_b32_e32 v43, 16, v44
	s_waitcnt vmcnt(13)
	v_mul_f16_sdwa v46, v43, v127 dst_sel:DWORD dst_unused:UNUSED_PAD src0_sel:DWORD src1_sel:WORD_1
	v_mul_f16_sdwa v53, v44, v127 dst_sel:DWORD dst_unused:UNUSED_PAD src0_sel:DWORD src1_sel:WORD_1
	v_fma_f16 v44, v44, v127, -v46
	v_fmac_f16_e32 v53, v43, v127
	v_lshrrev_b32_e32 v46, 16, v45
	v_add_nc_u32_e32 v43, 0xe00, v56
	s_waitcnt vmcnt(12)
	v_mul_f16_sdwa v147, v45, v133 dst_sel:DWORD dst_unused:UNUSED_PAD src0_sel:DWORD src1_sel:WORD_1
	v_pack_b32_f16 v44, v44, v53
	v_mul_f16_sdwa v146, v46, v133 dst_sel:DWORD dst_unused:UNUSED_PAD src0_sel:DWORD src1_sel:WORD_1
	v_fmac_f16_e32 v147, v46, v133
	ds_write_b32 v56, v44
	v_add_nc_u32_e32 v44, 0x1200, v56
	ds_read2_b32 v[53:54], v50 offset0:32 offset1:200
	ds_read2_b32 v[125:126], v43 offset0:56 offset1:168
	;; [unrolled: 1-line block ×5, first 2 shown]
	v_fma_f16 v146, v45, v133, -v146
	ds_read2_b32 v[45:46], v51 offset0:120 offset1:232
	v_add_nc_u32_e32 v133, 0x400, v56
	v_pack_b32_f16 v146, v146, v147
	s_waitcnt lgkmcnt(5)
	v_lshrrev_b32_e32 v147, 16, v54
	s_waitcnt vmcnt(11)
	v_mul_f16_sdwa v149, v54, v134 dst_sel:DWORD dst_unused:UNUSED_PAD src0_sel:DWORD src1_sel:WORD_1
	s_waitcnt lgkmcnt(4)
	v_lshrrev_b32_e32 v150, 16, v125
	s_waitcnt vmcnt(10)
	v_mul_f16_sdwa v151, v125, v135 dst_sel:DWORD dst_unused:UNUSED_PAD src0_sel:DWORD src1_sel:WORD_1
	;; [unrolled: 4-line block ×3, first 2 shown]
	v_lshrrev_b32_e32 v154, 16, v126
	s_waitcnt vmcnt(8)
	v_mul_f16_sdwa v155, v126, v137 dst_sel:DWORD dst_unused:UNUSED_PAD src0_sel:DWORD src1_sel:WORD_1
	v_lshrrev_b32_e32 v156, 16, v128
	s_waitcnt vmcnt(7)
	v_mul_f16_sdwa v157, v128, v138 dst_sel:DWORD dst_unused:UNUSED_PAD src0_sel:DWORD src1_sel:WORD_1
	s_waitcnt lgkmcnt(2)
	v_lshrrev_b32_e32 v158, 16, v129
	s_waitcnt vmcnt(6)
	v_mul_f16_sdwa v159, v129, v139 dst_sel:DWORD dst_unused:UNUSED_PAD src0_sel:DWORD src1_sel:WORD_1
	s_waitcnt lgkmcnt(1)
	v_lshrrev_b32_e32 v160, 16, v131
	s_waitcnt vmcnt(5)
	v_mul_f16_sdwa v161, v131, v140 dst_sel:DWORD dst_unused:UNUSED_PAD src0_sel:DWORD src1_sel:WORD_1
	v_lshrrev_b32_e32 v162, 16, v130
	s_waitcnt vmcnt(4)
	v_mul_f16_sdwa v163, v130, v141 dst_sel:DWORD dst_unused:UNUSED_PAD src0_sel:DWORD src1_sel:WORD_1
	;; [unrolled: 3-line block ×3, first 2 shown]
	s_waitcnt lgkmcnt(0)
	v_lshrrev_b32_e32 v166, 16, v45
	s_waitcnt vmcnt(2)
	v_mul_f16_sdwa v167, v45, v143 dst_sel:DWORD dst_unused:UNUSED_PAD src0_sel:DWORD src1_sel:WORD_1
	v_lshrrev_b32_e32 v168, 16, v53
	s_waitcnt vmcnt(1)
	v_mul_f16_sdwa v169, v53, v144 dst_sel:DWORD dst_unused:UNUSED_PAD src0_sel:DWORD src1_sel:WORD_1
	v_lshrrev_b32_e32 v170, 16, v46
	v_mul_f16_sdwa v172, v147, v134 dst_sel:DWORD dst_unused:UNUSED_PAD src0_sel:DWORD src1_sel:WORD_1
	v_fmac_f16_e32 v149, v147, v134
	v_mul_f16_sdwa v147, v150, v135 dst_sel:DWORD dst_unused:UNUSED_PAD src0_sel:DWORD src1_sel:WORD_1
	v_fmac_f16_e32 v151, v150, v135
	;; [unrolled: 2-line block ×9, first 2 shown]
	v_mul_f16_sdwa v164, v166, v143 dst_sel:DWORD dst_unused:UNUSED_PAD src0_sel:DWORD src1_sel:WORD_1
	s_waitcnt vmcnt(0)
	v_mul_f16_sdwa v171, v46, v145 dst_sel:DWORD dst_unused:UNUSED_PAD src0_sel:DWORD src1_sel:WORD_1
	v_fmac_f16_e32 v167, v166, v143
	v_mul_f16_sdwa v166, v168, v144 dst_sel:DWORD dst_unused:UNUSED_PAD src0_sel:DWORD src1_sel:WORD_1
	v_fmac_f16_e32 v169, v168, v144
	v_mul_f16_sdwa v168, v170, v145 dst_sel:DWORD dst_unused:UNUSED_PAD src0_sel:DWORD src1_sel:WORD_1
	v_fma_f16 v54, v54, v134, -v172
	v_fma_f16 v125, v125, v135, -v147
	;; [unrolled: 1-line block ×9, first 2 shown]
	v_fmac_f16_e32 v171, v170, v145
	v_fma_f16 v132, v132, v142, -v162
	v_fma_f16 v53, v53, v144, -v166
	;; [unrolled: 1-line block ×3, first 2 shown]
	v_pack_b32_f16 v54, v54, v149
	v_pack_b32_f16 v125, v125, v151
	;; [unrolled: 1-line block ×12, first 2 shown]
	ds_write2_b32 v47, v54, v125 offset0:72 offset1:184
	ds_write2_b32 v56, v146, v127 offset0:112 offset1:224
	;; [unrolled: 1-line block ×6, first 2 shown]
	ds_write_b32 v56, v46 offset:6048
	s_and_saveexec_b32 s2, vcc_lo
	s_cbranch_execz .LBB0_25
; %bb.24:
	v_add_co_u32 v45, s1, 0x800, v41
	v_add_co_ci_u32_e64 v46, s1, 0, v42, s1
	v_add_co_u32 v41, s1, 0x1800, v41
	v_add_co_ci_u32_e64 v42, s1, 0, v42, s1
	s_clause 0x1
	global_load_dword v45, v[45:46], off offset:1088
	global_load_dword v41, v[41:42], off offset:352
	ds_read_b32 v42, v56 offset:3136
	ds_read_b32 v46, v56 offset:6496
	s_waitcnt lgkmcnt(1)
	v_lshrrev_b32_e32 v47, 16, v42
	s_waitcnt lgkmcnt(0)
	v_lshrrev_b32_e32 v48, 16, v46
	s_waitcnt vmcnt(1)
	v_mul_f16_sdwa v53, v47, v45 dst_sel:DWORD dst_unused:UNUSED_PAD src0_sel:DWORD src1_sel:WORD_1
	v_mul_f16_sdwa v54, v42, v45 dst_sel:DWORD dst_unused:UNUSED_PAD src0_sel:DWORD src1_sel:WORD_1
	s_waitcnt vmcnt(0)
	v_mul_f16_sdwa v125, v48, v41 dst_sel:DWORD dst_unused:UNUSED_PAD src0_sel:DWORD src1_sel:WORD_1
	v_mul_f16_sdwa v126, v46, v41 dst_sel:DWORD dst_unused:UNUSED_PAD src0_sel:DWORD src1_sel:WORD_1
	v_fma_f16 v42, v42, v45, -v53
	v_fmac_f16_e32 v54, v47, v45
	v_fma_f16 v45, v46, v41, -v125
	v_fmac_f16_e32 v126, v48, v41
	v_pack_b32_f16 v41, v42, v54
	v_pack_b32_f16 v42, v45, v126
	ds_write_b32 v56, v41 offset:3136
	ds_write_b32 v56, v42 offset:6496
.LBB0_25:
	s_or_b32 exec_lo, exec_lo, s2
	s_waitcnt lgkmcnt(0)
	s_barrier
	buffer_gl0_inv
	ds_read2_b32 v[47:48], v56 offset1:112
	ds_read2_b32 v[41:42], v50 offset0:32 offset1:200
	ds_read2_b32 v[53:54], v43 offset0:56 offset1:168
	ds_read2_b32 v[45:46], v49 offset0:96 offset1:208
	ds_read2_b32 v[49:50], v44 offset0:24 offset1:136
	ds_read2_b32 v[43:44], v52 offset0:64 offset1:176
	ds_read2_b32 v[51:52], v51 offset0:120 offset1:232
	v_lshlrev_b32_e32 v126, 2, v91
	v_lshlrev_b32_e32 v125, 2, v92
	s_and_saveexec_b32 s1, vcc_lo
	s_cbranch_execz .LBB0_27
; %bb.26:
	ds_read_b32 v123, v56 offset:3136
	ds_read_b32 v121, v56 offset:6496
	s_waitcnt lgkmcnt(1)
	v_lshrrev_b32_e32 v124, 16, v123
	s_waitcnt lgkmcnt(0)
	v_lshrrev_b32_e32 v122, 16, v121
.LBB0_27:
	s_or_b32 exec_lo, exec_lo, s1
	s_waitcnt lgkmcnt(5)
	v_pk_add_f16 v128, v47, v42 neg_lo:[0,1] neg_hi:[0,1]
	s_waitcnt lgkmcnt(4)
	v_pk_add_f16 v53, v48, v53 neg_lo:[0,1] neg_hi:[0,1]
	;; [unrolled: 2-line block ×3, first 2 shown]
	v_sub_f16_e32 v121, v123, v121
	v_sub_f16_e32 v122, v124, v122
	v_pk_fma_f16 v127, v47, 2.0, v128 op_sel_hi:[1,0,1] neg_lo:[0,0,1] neg_hi:[0,0,1]
	s_waitcnt lgkmcnt(2)
	v_pk_add_f16 v49, v46, v49 neg_lo:[0,1] neg_hi:[0,1]
	s_waitcnt lgkmcnt(0)
	v_pk_add_f16 v42, v41, v52 neg_lo:[0,1] neg_hi:[0,1]
	v_pk_fma_f16 v52, v48, 2.0, v53 op_sel_hi:[1,0,1] neg_lo:[0,0,1] neg_hi:[0,0,1]
	v_pk_add_f16 v129, v43, v50 neg_lo:[0,1] neg_hi:[0,1]
	v_pk_add_f16 v51, v44, v51 neg_lo:[0,1] neg_hi:[0,1]
	v_fma_f16 v91, v123, 2.0, -v121
	v_fma_f16 v92, v124, 2.0, -v122
	s_barrier
	buffer_gl0_inv
	ds_write_b64 v76, v[127:128]
	ds_write_b64 v78, v[52:53]
	v_pk_fma_f16 v53, v45, 2.0, v54 op_sel_hi:[1,0,1] neg_lo:[0,0,1] neg_hi:[0,0,1]
	v_pk_fma_f16 v48, v46, 2.0, v49 op_sel_hi:[1,0,1] neg_lo:[0,0,1] neg_hi:[0,0,1]
	;; [unrolled: 1-line block ×5, first 2 shown]
	ds_write_b64 v75, v[53:54]
	ds_write_b64 v77, v[48:49]
	;; [unrolled: 1-line block ×5, first 2 shown]
	s_and_saveexec_b32 s1, vcc_lo
	s_cbranch_execz .LBB0_29
; %bb.28:
	v_perm_b32 v42, v122, v121, 0x5040100
	v_perm_b32 v41, v92, v91, 0x5040100
	ds_write_b64 v81, v[41:42]
.LBB0_29:
	s_or_b32 exec_lo, exec_lo, s1
	v_add_nc_u32_e32 v45, 0xe00, v56
	v_add_nc_u32_e32 v41, 0xa00, v56
	;; [unrolled: 1-line block ×6, first 2 shown]
	s_waitcnt lgkmcnt(0)
	s_barrier
	buffer_gl0_inv
	ds_read2_b32 v[43:44], v56 offset1:112
	ds_read2_b32 v[41:42], v41 offset0:32 offset1:200
	ds_read2_b32 v[53:54], v45 offset0:56 offset1:168
	;; [unrolled: 1-line block ×6, first 2 shown]
	s_and_saveexec_b32 s1, vcc_lo
	s_cbranch_execz .LBB0_31
; %bb.30:
	ds_read_b32 v91, v56 offset:3136
	ds_read_b32 v121, v56 offset:6496
	s_waitcnt lgkmcnt(1)
	v_lshrrev_b32_e32 v92, 16, v91
	s_waitcnt lgkmcnt(0)
	v_lshrrev_b32_e32 v122, 16, v121
.LBB0_31:
	s_or_b32 exec_lo, exec_lo, s1
	s_waitcnt lgkmcnt(5)
	v_lshrrev_b32_e32 v76, 16, v42
	s_waitcnt lgkmcnt(4)
	v_lshrrev_b32_e32 v81, 16, v54
	v_lshrrev_b32_e32 v78, 16, v53
	v_mul_f16_sdwa v134, v73, v54 dst_sel:DWORD dst_unused:UNUSED_PAD src0_sel:WORD_1 src1_sel:DWORD
	s_waitcnt lgkmcnt(2)
	v_lshrrev_b32_e32 v124, 16, v51
	v_mul_f16_sdwa v128, v73, v76 dst_sel:DWORD dst_unused:UNUSED_PAD src0_sel:WORD_1 src1_sel:DWORD
	v_mul_f16_sdwa v133, v73, v81 dst_sel:DWORD dst_unused:UNUSED_PAD src0_sel:WORD_1 src1_sel:DWORD
	v_mul_f16_sdwa v130, v73, v42 dst_sel:DWORD dst_unused:UNUSED_PAD src0_sel:WORD_1 src1_sel:DWORD
	s_waitcnt lgkmcnt(0)
	v_lshrrev_b32_e32 v129, 16, v49
	v_lshrrev_b32_e32 v126, 16, v52
	v_fmac_f16_e32 v128, v73, v42
	v_mul_f16_sdwa v42, v73, v78 dst_sel:DWORD dst_unused:UNUSED_PAD src0_sel:WORD_1 src1_sel:DWORD
	v_fmac_f16_e32 v133, v73, v54
	v_fma_f16 v54, v73, v81, -v134
	v_mul_f16_sdwa v81, v73, v51 dst_sel:DWORD dst_unused:UNUSED_PAD src0_sel:WORD_1 src1_sel:DWORD
	v_fma_f16 v76, v73, v76, -v130
	v_mul_f16_sdwa v130, v73, v53 dst_sel:DWORD dst_unused:UNUSED_PAD src0_sel:WORD_1 src1_sel:DWORD
	v_fmac_f16_e32 v42, v73, v53
	v_mul_f16_sdwa v53, v73, v124 dst_sel:DWORD dst_unused:UNUSED_PAD src0_sel:WORD_1 src1_sel:DWORD
	v_lshrrev_b32_e32 v132, 16, v50
	v_mul_f16_sdwa v134, v73, v129 dst_sel:DWORD dst_unused:UNUSED_PAD src0_sel:WORD_1 src1_sel:DWORD
	v_fma_f16 v81, v73, v124, -v81
	v_mul_f16_sdwa v124, v73, v49 dst_sel:DWORD dst_unused:UNUSED_PAD src0_sel:WORD_1 src1_sel:DWORD
	v_fma_f16 v78, v73, v78, -v130
	v_fmac_f16_e32 v53, v73, v51
	v_mul_f16_sdwa v51, v73, v126 dst_sel:DWORD dst_unused:UNUSED_PAD src0_sel:WORD_1 src1_sel:DWORD
	v_mul_f16_sdwa v130, v73, v52 dst_sel:DWORD dst_unused:UNUSED_PAD src0_sel:WORD_1 src1_sel:DWORD
	v_lshrrev_b32_e32 v75, 16, v43
	v_fmac_f16_e32 v134, v73, v49
	v_mul_f16_sdwa v49, v73, v132 dst_sel:DWORD dst_unused:UNUSED_PAD src0_sel:WORD_1 src1_sel:DWORD
	v_fma_f16 v124, v73, v129, -v124
	v_mul_f16_sdwa v129, v73, v122 dst_sel:DWORD dst_unused:UNUSED_PAD src0_sel:WORD_1 src1_sel:DWORD
	v_lshrrev_b32_e32 v77, 16, v44
	v_fmac_f16_e32 v51, v73, v52
	v_fma_f16 v52, v73, v126, -v130
	v_mul_f16_sdwa v126, v73, v50 dst_sel:DWORD dst_unused:UNUSED_PAD src0_sel:WORD_1 src1_sel:DWORD
	v_lshrrev_b32_e32 v79, 16, v47
	v_mul_f16_sdwa v130, v73, v121 dst_sel:DWORD dst_unused:UNUSED_PAD src0_sel:WORD_1 src1_sel:DWORD
	v_fmac_f16_e32 v49, v73, v50
	v_sub_f16_e32 v50, v43, v128
	v_fmac_f16_e32 v129, v73, v121
	v_sub_f16_e32 v121, v75, v76
	v_lshrrev_b32_e32 v123, 16, v48
	v_sub_f16_e32 v42, v44, v42
	v_sub_f16_e32 v78, v77, v78
	v_lshrrev_b32_e32 v125, 16, v45
	v_lshrrev_b32_e32 v127, 16, v46
	;; [unrolled: 1-line block ×3, first 2 shown]
	v_fma_f16 v126, v73, v132, -v126
	v_fma_f16 v73, v73, v122, -v130
	v_fma_f16 v43, v43, 2.0, -v50
	v_sub_f16_e32 v122, v47, v133
	v_fma_f16 v128, v75, 2.0, -v121
	v_sub_f16_e32 v54, v79, v54
	v_fma_f16 v44, v44, 2.0, -v42
	v_fma_f16 v130, v77, 2.0, -v78
	v_sub_f16_e32 v53, v48, v53
	v_sub_f16_e32 v81, v123, v81
	;; [unrolled: 1-line block ×8, first 2 shown]
	v_fma_f16 v47, v47, 2.0, -v122
	v_fma_f16 v79, v79, 2.0, -v54
	v_sub_f16_e32 v76, v91, v129
	v_sub_f16_e32 v77, v92, v73
	v_pack_b32_f16 v43, v43, v128
	v_pack_b32_f16 v50, v50, v121
	v_fma_f16 v48, v48, 2.0, -v53
	v_fma_f16 v123, v123, 2.0, -v81
	v_pack_b32_f16 v44, v44, v130
	v_pack_b32_f16 v42, v42, v78
	v_fma_f16 v45, v45, 2.0, -v51
	v_fma_f16 v125, v125, 2.0, -v52
	;; [unrolled: 1-line block ×8, first 2 shown]
	s_barrier
	buffer_gl0_inv
	ds_write2_b32 v87, v43, v50 offset1:2
	ds_write2_b32 v88, v44, v42 offset1:2
	v_pack_b32_f16 v42, v47, v79
	v_pack_b32_f16 v43, v122, v54
	;; [unrolled: 1-line block ×10, first 2 shown]
	ds_write2_b32 v82, v42, v43 offset1:2
	ds_write2_b32 v83, v44, v47 offset1:2
	;; [unrolled: 1-line block ×5, first 2 shown]
	s_and_saveexec_b32 s1, vcc_lo
	s_cbranch_execz .LBB0_33
; %bb.32:
	v_and_or_b32 v41, 0x6fc, v55, v72
	v_perm_b32 v42, v75, v73, 0x5040100
	v_perm_b32 v43, v77, v76, 0x5040100
	v_lshlrev_b32_e32 v41, 2, v41
	ds_write2_b32 v41, v42, v43 offset1:2
.LBB0_33:
	s_or_b32 exec_lo, exec_lo, s1
	v_add_nc_u32_e32 v45, 0xe00, v56
	v_add_nc_u32_e32 v41, 0xa00, v56
	;; [unrolled: 1-line block ×6, first 2 shown]
	s_waitcnt lgkmcnt(0)
	s_barrier
	buffer_gl0_inv
	ds_read2_b32 v[43:44], v56 offset1:112
	ds_read2_b32 v[41:42], v41 offset0:32 offset1:200
	ds_read2_b32 v[53:54], v45 offset0:56 offset1:168
	;; [unrolled: 1-line block ×6, first 2 shown]
	s_and_saveexec_b32 s1, vcc_lo
	s_cbranch_execz .LBB0_35
; %bb.34:
	ds_read_b32 v73, v56 offset:3136
	ds_read_b32 v76, v56 offset:6496
	s_waitcnt lgkmcnt(1)
	v_lshrrev_b32_e32 v75, 16, v73
	s_waitcnt lgkmcnt(0)
	v_lshrrev_b32_e32 v77, 16, v76
.LBB0_35:
	s_or_b32 exec_lo, exec_lo, s1
	s_waitcnt lgkmcnt(5)
	v_lshrrev_b32_e32 v78, 16, v42
	s_waitcnt lgkmcnt(4)
	v_lshrrev_b32_e32 v81, 16, v53
	v_lshrrev_b32_e32 v83, 16, v54
	s_waitcnt lgkmcnt(2)
	v_lshrrev_b32_e32 v85, 16, v51
	v_mul_f16_sdwa v121, v89, v42 dst_sel:DWORD dst_unused:UNUSED_PAD src0_sel:WORD_1 src1_sel:DWORD
	v_mul_f16_sdwa v91, v89, v78 dst_sel:DWORD dst_unused:UNUSED_PAD src0_sel:WORD_1 src1_sel:DWORD
	s_waitcnt lgkmcnt(0)
	v_lshrrev_b32_e32 v92, 16, v49
	v_mul_f16_sdwa v124, v89, v83 dst_sel:DWORD dst_unused:UNUSED_PAD src0_sel:WORD_1 src1_sel:DWORD
	v_mul_f16_sdwa v125, v89, v54 dst_sel:DWORD dst_unused:UNUSED_PAD src0_sel:WORD_1 src1_sel:DWORD
	v_lshrrev_b32_e32 v87, 16, v52
	v_fmac_f16_e32 v91, v89, v42
	v_mul_f16_sdwa v42, v89, v81 dst_sel:DWORD dst_unused:UNUSED_PAD src0_sel:WORD_1 src1_sel:DWORD
	v_fma_f16 v78, v89, v78, -v121
	v_mul_f16_sdwa v121, v89, v53 dst_sel:DWORD dst_unused:UNUSED_PAD src0_sel:WORD_1 src1_sel:DWORD
	v_lshrrev_b32_e32 v123, 16, v50
	v_fmac_f16_e32 v124, v89, v54
	v_fmac_f16_e32 v42, v89, v53
	v_mul_f16_sdwa v53, v89, v85 dst_sel:DWORD dst_unused:UNUSED_PAD src0_sel:WORD_1 src1_sel:DWORD
	v_fma_f16 v54, v89, v83, -v125
	v_mul_f16_sdwa v83, v89, v51 dst_sel:DWORD dst_unused:UNUSED_PAD src0_sel:WORD_1 src1_sel:DWORD
	v_mul_f16_sdwa v125, v89, v92 dst_sel:DWORD dst_unused:UNUSED_PAD src0_sel:WORD_1 src1_sel:DWORD
	v_fma_f16 v81, v89, v81, -v121
	v_fmac_f16_e32 v53, v89, v51
	v_mul_f16_sdwa v51, v89, v87 dst_sel:DWORD dst_unused:UNUSED_PAD src0_sel:WORD_1 src1_sel:DWORD
	v_mul_f16_sdwa v121, v89, v52 dst_sel:DWORD dst_unused:UNUSED_PAD src0_sel:WORD_1 src1_sel:DWORD
	v_lshrrev_b32_e32 v72, 16, v43
	v_fma_f16 v83, v89, v85, -v83
	v_mul_f16_sdwa v85, v89, v49 dst_sel:DWORD dst_unused:UNUSED_PAD src0_sel:WORD_1 src1_sel:DWORD
	v_fmac_f16_e32 v125, v89, v49
	v_mul_f16_sdwa v49, v89, v123 dst_sel:DWORD dst_unused:UNUSED_PAD src0_sel:WORD_1 src1_sel:DWORD
	v_lshrrev_b32_e32 v79, 16, v44
	v_fmac_f16_e32 v51, v89, v52
	v_fma_f16 v52, v89, v87, -v121
	v_mul_f16_sdwa v87, v89, v50 dst_sel:DWORD dst_unused:UNUSED_PAD src0_sel:WORD_1 src1_sel:DWORD
	v_lshrrev_b32_e32 v82, 16, v47
	v_fma_f16 v85, v89, v92, -v85
	v_mul_f16_sdwa v92, v89, v77 dst_sel:DWORD dst_unused:UNUSED_PAD src0_sel:WORD_1 src1_sel:DWORD
	v_mul_f16_sdwa v121, v89, v76 dst_sel:DWORD dst_unused:UNUSED_PAD src0_sel:WORD_1 src1_sel:DWORD
	v_fmac_f16_e32 v49, v89, v50
	v_sub_f16_e32 v50, v43, v91
	v_sub_f16_e32 v78, v72, v78
	v_lshrrev_b32_e32 v84, 16, v48
	v_sub_f16_e32 v42, v44, v42
	v_sub_f16_e32 v81, v79, v81
	v_lshrrev_b32_e32 v86, 16, v45
	v_lshrrev_b32_e32 v88, 16, v46
	;; [unrolled: 1-line block ×3, first 2 shown]
	v_fma_f16 v87, v89, v123, -v87
	v_fmac_f16_e32 v92, v89, v76
	v_fma_f16 v77, v89, v77, -v121
	v_fma_f16 v43, v43, 2.0, -v50
	v_sub_f16_e32 v89, v47, v124
	v_fma_f16 v91, v72, 2.0, -v78
	v_sub_f16_e32 v54, v82, v54
	v_fma_f16 v44, v44, 2.0, -v42
	v_fma_f16 v79, v79, 2.0, -v81
	v_sub_f16_e32 v53, v48, v53
	v_sub_f16_e32 v83, v84, v83
	;; [unrolled: 1-line block ×8, first 2 shown]
	v_fma_f16 v47, v47, 2.0, -v89
	v_fma_f16 v82, v82, 2.0, -v54
	v_sub_f16_e32 v76, v73, v92
	v_sub_f16_e32 v72, v75, v77
	v_pack_b32_f16 v43, v43, v91
	v_pack_b32_f16 v50, v50, v78
	v_fma_f16 v48, v48, 2.0, -v53
	v_fma_f16 v84, v84, 2.0, -v83
	v_pack_b32_f16 v44, v44, v79
	v_pack_b32_f16 v42, v42, v81
	v_fma_f16 v45, v45, 2.0, -v51
	v_fma_f16 v86, v86, 2.0, -v52
	;; [unrolled: 1-line block ×8, first 2 shown]
	s_barrier
	buffer_gl0_inv
	ds_write2_b32 v98, v43, v50 offset1:4
	ds_write2_b32 v99, v44, v42 offset1:4
	v_pack_b32_f16 v42, v47, v82
	v_pack_b32_f16 v43, v89, v54
	;; [unrolled: 1-line block ×10, first 2 shown]
	ds_write2_b32 v93, v42, v43 offset1:4
	ds_write2_b32 v94, v44, v47 offset1:4
	;; [unrolled: 1-line block ×5, first 2 shown]
	s_and_saveexec_b32 s1, vcc_lo
	s_cbranch_execz .LBB0_37
; %bb.36:
	v_and_or_b32 v41, 0x6f8, v55, v74
	v_perm_b32 v42, v75, v73, 0x5040100
	v_perm_b32 v43, v72, v76, 0x5040100
	v_lshlrev_b32_e32 v41, 2, v41
	ds_write2_b32 v41, v42, v43 offset1:4
.LBB0_37:
	s_or_b32 exec_lo, exec_lo, s1
	v_add_nc_u32_e32 v43, 0xe00, v56
	v_add_nc_u32_e32 v41, 0xa00, v56
	;; [unrolled: 1-line block ×6, first 2 shown]
	s_waitcnt lgkmcnt(0)
	s_barrier
	buffer_gl0_inv
	ds_read2_b32 v[45:46], v56 offset1:112
	ds_read2_b32 v[41:42], v41 offset0:32 offset1:200
	ds_read2_b32 v[53:54], v43 offset0:56 offset1:168
	;; [unrolled: 1-line block ×6, first 2 shown]
	s_and_saveexec_b32 s1, vcc_lo
	s_cbranch_execz .LBB0_39
; %bb.38:
	ds_read_b32 v73, v56 offset:3136
	ds_read_b32 v76, v56 offset:6496
	s_waitcnt lgkmcnt(1)
	v_lshrrev_b32_e32 v75, 16, v73
	s_waitcnt lgkmcnt(0)
	v_lshrrev_b32_e32 v72, 16, v76
.LBB0_39:
	s_or_b32 exec_lo, exec_lo, s1
	s_waitcnt lgkmcnt(5)
	v_lshrrev_b32_e32 v77, 16, v42
	s_waitcnt lgkmcnt(4)
	v_lshrrev_b32_e32 v79, 16, v53
	v_lshrrev_b32_e32 v82, 16, v54
	s_waitcnt lgkmcnt(2)
	v_lshrrev_b32_e32 v86, 16, v52
	v_mul_f16_sdwa v95, v100, v53 dst_sel:DWORD dst_unused:UNUSED_PAD src0_sel:WORD_1 src1_sel:DWORD
	v_mul_f16_sdwa v91, v100, v77 dst_sel:DWORD dst_unused:UNUSED_PAD src0_sel:WORD_1 src1_sel:DWORD
	;; [unrolled: 1-line block ×3, first 2 shown]
	v_lshrrev_b32_e32 v84, 16, v51
	s_waitcnt lgkmcnt(0)
	v_lshrrev_b32_e32 v88, 16, v49
	v_mul_f16_sdwa v93, v100, v42 dst_sel:DWORD dst_unused:UNUSED_PAD src0_sel:WORD_1 src1_sel:DWORD
	v_fmac_f16_e32 v91, v100, v42
	v_mul_f16_sdwa v42, v100, v82 dst_sel:DWORD dst_unused:UNUSED_PAD src0_sel:WORD_1 src1_sel:DWORD
	v_fmac_f16_e32 v94, v100, v53
	v_fma_f16 v53, v100, v79, -v95
	v_mul_f16_sdwa v79, v100, v54 dst_sel:DWORD dst_unused:UNUSED_PAD src0_sel:WORD_1 src1_sel:DWORD
	v_mul_f16_sdwa v95, v100, v86 dst_sel:DWORD dst_unused:UNUSED_PAD src0_sel:WORD_1 src1_sel:DWORD
	v_fma_f16 v77, v100, v77, -v93
	v_fmac_f16_e32 v42, v100, v54
	v_mul_f16_sdwa v54, v100, v84 dst_sel:DWORD dst_unused:UNUSED_PAD src0_sel:WORD_1 src1_sel:DWORD
	v_mul_f16_sdwa v93, v100, v51 dst_sel:DWORD dst_unused:UNUSED_PAD src0_sel:WORD_1 src1_sel:DWORD
	v_fma_f16 v79, v100, v82, -v79
	v_mul_f16_sdwa v82, v100, v52 dst_sel:DWORD dst_unused:UNUSED_PAD src0_sel:WORD_1 src1_sel:DWORD
	v_fmac_f16_e32 v95, v100, v52
	v_mul_f16_sdwa v52, v100, v88 dst_sel:DWORD dst_unused:UNUSED_PAD src0_sel:WORD_1 src1_sel:DWORD
	v_lshrrev_b32_e32 v92, 16, v50
	v_lshrrev_b32_e32 v74, 16, v45
	v_fmac_f16_e32 v54, v100, v51
	v_fma_f16 v51, v100, v84, -v93
	v_mul_f16_sdwa v84, v100, v49 dst_sel:DWORD dst_unused:UNUSED_PAD src0_sel:WORD_1 src1_sel:DWORD
	v_fmac_f16_e32 v52, v100, v49
	v_mul_f16_sdwa v49, v100, v72 dst_sel:DWORD dst_unused:UNUSED_PAD src0_sel:WORD_1 src1_sel:DWORD
	v_lshrrev_b32_e32 v78, 16, v46
	v_fma_f16 v82, v100, v86, -v82
	v_mul_f16_sdwa v86, v100, v92 dst_sel:DWORD dst_unused:UNUSED_PAD src0_sel:WORD_1 src1_sel:DWORD
	v_mul_f16_sdwa v93, v100, v50 dst_sel:DWORD dst_unused:UNUSED_PAD src0_sel:WORD_1 src1_sel:DWORD
	v_lshrrev_b32_e32 v81, 16, v47
	v_fma_f16 v84, v100, v88, -v84
	v_mul_f16_sdwa v88, v100, v76 dst_sel:DWORD dst_unused:UNUSED_PAD src0_sel:WORD_1 src1_sel:DWORD
	v_fmac_f16_e32 v49, v100, v76
	v_sub_f16_e32 v76, v45, v91
	v_sub_f16_e32 v77, v74, v77
	v_lshrrev_b32_e32 v83, 16, v48
	v_sub_f16_e32 v91, v46, v94
	v_sub_f16_e32 v53, v78, v53
	v_lshrrev_b32_e32 v85, 16, v43
	v_lshrrev_b32_e32 v87, 16, v44
	;; [unrolled: 1-line block ×3, first 2 shown]
	v_fmac_f16_e32 v86, v100, v50
	v_fma_f16 v50, v100, v92, -v93
	v_fma_f16 v72, v100, v72, -v88
	v_fma_f16 v45, v45, 2.0, -v76
	v_fma_f16 v74, v74, 2.0, -v77
	v_sub_f16_e32 v88, v47, v42
	v_sub_f16_e32 v79, v81, v79
	v_fma_f16 v46, v46, 2.0, -v91
	v_fma_f16 v78, v78, 2.0, -v53
	v_sub_f16_e32 v54, v48, v54
	v_sub_f16_e32 v51, v83, v51
	;; [unrolled: 1-line block ×8, first 2 shown]
	v_fma_f16 v47, v47, 2.0, -v88
	v_fma_f16 v81, v81, 2.0, -v79
	v_sub_f16_e32 v42, v73, v49
	v_pack_b32_f16 v45, v45, v74
	v_pack_b32_f16 v49, v76, v77
	v_fma_f16 v48, v48, 2.0, -v54
	v_fma_f16 v83, v83, 2.0, -v51
	v_pack_b32_f16 v46, v46, v78
	v_pack_b32_f16 v53, v91, v53
	v_fma_f16 v43, v43, 2.0, -v92
	v_fma_f16 v85, v85, 2.0, -v82
	;; [unrolled: 1-line block ×6, first 2 shown]
	v_sub_f16_e32 v72, v75, v72
	s_barrier
	buffer_gl0_inv
	ds_write2_b32 v106, v45, v49 offset1:8
	ds_write2_b32 v107, v46, v53 offset1:8
	v_pack_b32_f16 v45, v47, v81
	v_pack_b32_f16 v46, v88, v79
	v_pack_b32_f16 v47, v48, v83
	v_pack_b32_f16 v48, v54, v51
	v_pack_b32_f16 v43, v43, v85
	v_pack_b32_f16 v49, v92, v82
	v_pack_b32_f16 v44, v44, v87
	v_pack_b32_f16 v51, v52, v84
	v_pack_b32_f16 v41, v41, v89
	v_pack_b32_f16 v50, v86, v50
	ds_write2_b32 v101, v45, v46 offset1:8
	ds_write2_b32 v102, v47, v48 offset1:8
	ds_write2_b32 v103, v43, v49 offset1:8
	ds_write2_b32 v104, v44, v51 offset1:8
	ds_write2_b32 v105, v41, v50 offset1:8
	s_and_saveexec_b32 s1, vcc_lo
	s_cbranch_execz .LBB0_41
; %bb.40:
	v_fma_f16 v41, v73, 2.0, -v42
	v_and_or_b32 v43, 0x6f0, v55, v90
	v_fma_f16 v44, v75, 2.0, -v72
	v_lshlrev_b32_e32 v43, 2, v43
	v_pack_b32_f16 v41, v41, v44
	v_perm_b32 v44, v72, v42, 0x5040100
	ds_write2_b32 v43, v41, v44 offset1:8
.LBB0_41:
	s_or_b32 exec_lo, exec_lo, s1
	v_add_nc_u32_e32 v41, 0x600, v56
	v_add_nc_u32_e32 v47, 0x1000, v56
	s_waitcnt lgkmcnt(0)
	s_barrier
	buffer_gl0_inv
	ds_read2_b32 v[43:44], v41 offset0:64 offset1:176
	v_add_nc_u32_e32 v76, 0xa00, v56
	ds_read2_b32 v[45:46], v56 offset1:112
	ds_read_b32 v77, v56 offset:6272
	ds_read2_b32 v[47:48], v47 offset0:96 offset1:208
	v_add_nc_u32_e32 v55, 0x200, v56
	v_add_nc_u32_e32 v53, 0x1400, v56
	ds_read2_b32 v[49:50], v76 offset0:32 offset1:144
	v_add_nc_u32_e32 v73, 0xc00, v56
	ds_read2_b32 v[51:52], v55 offset0:96 offset1:208
	ds_read2_b32 v[53:54], v53 offset0:64 offset1:176
	;; [unrolled: 1-line block ×3, first 2 shown]
	s_waitcnt lgkmcnt(0)
	s_barrier
	buffer_gl0_inv
	v_lshrrev_b32_e32 v82, 16, v44
	v_mul_f16_sdwa v93, v31, v44 dst_sel:DWORD dst_unused:UNUSED_PAD src0_sel:WORD_1 src1_sel:DWORD
	v_lshrrev_b32_e32 v81, 16, v77
	v_lshrrev_b32_e32 v83, 16, v47
	v_lshrrev_b32_e32 v85, 16, v48
	v_mul_f16_sdwa v92, v31, v82 dst_sel:DWORD dst_unused:UNUSED_PAD src0_sel:WORD_1 src1_sel:DWORD
	v_lshrrev_b32_e32 v84, 16, v49
	v_fma_f16 v82, v31, v82, -v93
	v_mul_f16_sdwa v95, v32, v83 dst_sel:DWORD dst_unused:UNUSED_PAD src0_sel:WORD_1 src1_sel:DWORD
	v_lshrrev_b32_e32 v87, 16, v50
	v_fmac_f16_e32 v92, v31, v44
	v_mul_f16_sdwa v44, v32, v47 dst_sel:DWORD dst_unused:UNUSED_PAD src0_sel:WORD_1 src1_sel:DWORD
	v_mul_f16_sdwa v93, v31, v84 dst_sel:DWORD dst_unused:UNUSED_PAD src0_sel:WORD_1 src1_sel:DWORD
	v_fmac_f16_e32 v95, v32, v47
	v_mul_f16_sdwa v47, v31, v49 dst_sel:DWORD dst_unused:UNUSED_PAD src0_sel:WORD_1 src1_sel:DWORD
	v_lshrrev_b32_e32 v88, 16, v53
	v_fma_f16 v44, v32, v83, -v44
	v_mul_f16_sdwa v83, v32, v85 dst_sel:DWORD dst_unused:UNUSED_PAD src0_sel:WORD_1 src1_sel:DWORD
	v_fmac_f16_e32 v93, v31, v49
	v_mul_f16_sdwa v49, v32, v48 dst_sel:DWORD dst_unused:UNUSED_PAD src0_sel:WORD_1 src1_sel:DWORD
	v_fma_f16 v47, v31, v84, -v47
	v_mul_f16_sdwa v84, v31, v87 dst_sel:DWORD dst_unused:UNUSED_PAD src0_sel:WORD_1 src1_sel:DWORD
	v_lshrrev_b32_e32 v90, 16, v74
	v_fmac_f16_e32 v83, v32, v48
	v_mul_f16_sdwa v48, v31, v50 dst_sel:DWORD dst_unused:UNUSED_PAD src0_sel:WORD_1 src1_sel:DWORD
	v_fma_f16 v49, v32, v85, -v49
	v_mul_f16_sdwa v85, v32, v88 dst_sel:DWORD dst_unused:UNUSED_PAD src0_sel:WORD_1 src1_sel:DWORD
	v_lshrrev_b32_e32 v91, 16, v54
	v_fmac_f16_e32 v84, v31, v50
	v_mul_f16_sdwa v50, v32, v53 dst_sel:DWORD dst_unused:UNUSED_PAD src0_sel:WORD_1 src1_sel:DWORD
	v_lshrrev_b32_e32 v94, 16, v75
	v_fma_f16 v48, v31, v87, -v48
	v_mul_f16_sdwa v87, v31, v90 dst_sel:DWORD dst_unused:UNUSED_PAD src0_sel:WORD_1 src1_sel:DWORD
	v_fmac_f16_e32 v85, v32, v53
	v_mul_f16_sdwa v53, v31, v74 dst_sel:DWORD dst_unused:UNUSED_PAD src0_sel:WORD_1 src1_sel:DWORD
	v_fma_f16 v50, v32, v88, -v50
	v_mul_f16_sdwa v88, v32, v91 dst_sel:DWORD dst_unused:UNUSED_PAD src0_sel:WORD_1 src1_sel:DWORD
	v_fmac_f16_e32 v87, v31, v74
	v_mul_f16_sdwa v74, v32, v54 dst_sel:DWORD dst_unused:UNUSED_PAD src0_sel:WORD_1 src1_sel:DWORD
	;; [unrolled: 4-line block ×4, first 2 shown]
	v_fma_f16 v31, v31, v94, -v54
	v_add_f16_e32 v54, v92, v95
	v_lshrrev_b32_e32 v78, 16, v45
	v_fmac_f16_e32 v91, v32, v77
	v_fma_f16 v32, v32, v81, -v75
	v_add_f16_e32 v75, v82, v44
	v_add_f16_e32 v77, v45, v92
	v_fma_f16 v45, -0.5, v54, v45
	v_sub_f16_e32 v54, v82, v44
	v_add_f16_e32 v81, v78, v82
	v_fmac_f16_e32 v78, -0.5, v75
	v_sub_f16_e32 v75, v92, v95
	v_lshrrev_b32_e32 v79, 16, v46
	v_fmamk_f16 v82, v54, 0xbaee, v45
	v_fmac_f16_e32 v45, 0x3aee, v54
	v_add_f16_e32 v54, v93, v83
	v_add_f16_e32 v44, v81, v44
	v_fmamk_f16 v81, v75, 0x3aee, v78
	v_fmac_f16_e32 v78, 0xbaee, v75
	v_add_f16_e32 v75, v47, v49
	v_add_f16_e32 v92, v46, v93
	v_fmac_f16_e32 v46, -0.5, v54
	v_sub_f16_e32 v54, v47, v49
	v_add_f16_e32 v47, v79, v47
	v_fmac_f16_e32 v79, -0.5, v75
	v_sub_f16_e32 v75, v93, v83
	v_lshrrev_b32_e32 v86, 16, v51
	v_add_f16_e32 v92, v92, v83
	v_add_f16_e32 v47, v47, v49
	;; [unrolled: 1-line block ×3, first 2 shown]
	v_fmamk_f16 v83, v54, 0xbaee, v46
	v_fmac_f16_e32 v46, 0x3aee, v54
	v_fmamk_f16 v54, v75, 0x3aee, v79
	v_fmac_f16_e32 v79, 0xbaee, v75
	v_add_f16_e32 v75, v48, v50
	v_add_f16_e32 v93, v51, v84
	v_fma_f16 v49, -0.5, v49, v51
	v_sub_f16_e32 v51, v48, v50
	v_add_f16_e32 v48, v86, v48
	v_fmac_f16_e32 v86, -0.5, v75
	v_sub_f16_e32 v75, v84, v85
	v_lshrrev_b32_e32 v89, 16, v52
	v_fmamk_f16 v84, v51, 0xbaee, v49
	v_add_f16_e32 v48, v48, v50
	v_add_f16_e32 v50, v87, v88
	v_fmac_f16_e32 v49, 0x3aee, v51
	v_fmamk_f16 v51, v75, 0x3aee, v86
	v_fmac_f16_e32 v86, 0xbaee, v75
	v_add_f16_e32 v75, v53, v74
	v_add_f16_e32 v93, v93, v85
	;; [unrolled: 1-line block ×3, first 2 shown]
	v_fmac_f16_e32 v52, -0.5, v50
	v_sub_f16_e32 v50, v53, v74
	v_add_f16_e32 v53, v89, v53
	v_fmac_f16_e32 v89, -0.5, v75
	v_sub_f16_e32 v75, v87, v88
	v_lshrrev_b32_e32 v73, 16, v43
	v_fmamk_f16 v87, v50, 0xbaee, v52
	v_fmac_f16_e32 v52, 0x3aee, v50
	v_add_f16_e32 v50, v53, v74
	v_add_f16_e32 v53, v90, v91
	v_fmamk_f16 v74, v75, 0x3aee, v89
	v_fmac_f16_e32 v89, 0xbaee, v75
	v_add_f16_e32 v75, v31, v32
	v_add_f16_e32 v77, v77, v95
	;; [unrolled: 1-line block ×4, first 2 shown]
	v_fmac_f16_e32 v43, -0.5, v53
	v_sub_f16_e32 v53, v31, v32
	v_add_f16_e32 v31, v73, v31
	v_fmac_f16_e32 v73, -0.5, v75
	v_sub_f16_e32 v75, v90, v91
	v_pack_b32_f16 v44, v77, v44
	v_fmamk_f16 v90, v53, 0xbaee, v43
	v_fmac_f16_e32 v43, 0x3aee, v53
	v_pack_b32_f16 v53, v82, v81
	v_pack_b32_f16 v45, v45, v78
	;; [unrolled: 1-line block ×4, first 2 shown]
	v_add_f16_e32 v88, v88, v91
	v_add_f16_e32 v31, v31, v32
	v_fmamk_f16 v32, v75, 0x3aee, v73
	v_pack_b32_f16 v46, v46, v79
	v_fmac_f16_e32 v73, 0xbaee, v75
	v_pack_b32_f16 v48, v93, v48
	v_pack_b32_f16 v51, v84, v51
	ds_write2_b32 v112, v44, v53 offset1:16
	ds_write_b32 v112, v45 offset:128
	ds_write2_b32 v111, v47, v54 offset1:16
	ds_write_b32 v111, v46 offset:128
	ds_write2_b32 v110, v48, v51 offset1:16
	v_pack_b32_f16 v44, v49, v86
	v_pack_b32_f16 v45, v85, v50
	;; [unrolled: 1-line block ×7, first 2 shown]
	ds_write_b32 v110, v44 offset:128
	ds_write2_b32 v109, v45, v46 offset1:16
	ds_write_b32 v109, v47 offset:128
	ds_write2_b32 v108, v31, v32 offset1:16
	ds_write_b32 v108, v48 offset:128
	v_add_nc_u32_e32 v44, 0xe00, v56
	v_add_nc_u32_e32 v45, 0x1200, v56
	;; [unrolled: 1-line block ×3, first 2 shown]
	s_waitcnt lgkmcnt(0)
	s_barrier
	buffer_gl0_inv
	ds_read2_b32 v[31:32], v56 offset1:112
	ds_read2_b32 v[48:49], v55 offset0:112 offset1:224
	ds_read2_b32 v[54:55], v41 offset0:96 offset1:208
	;; [unrolled: 1-line block ×6, first 2 shown]
	s_and_saveexec_b32 s1, s0
	s_cbranch_execz .LBB0_43
; %bb.42:
	v_add_nc_u32_e32 v37, 0x380, v56
	v_add_nc_u32_e32 v38, 0xb00, v56
	;; [unrolled: 1-line block ×3, first 2 shown]
	ds_read_b32 v119, v56 offset:6656
	ds_read2_b32 v[41:42], v37 offset1:240
	ds_read2_b32 v[37:38], v38 offset1:240
	;; [unrolled: 1-line block ×3, first 2 shown]
	s_waitcnt lgkmcnt(3)
	v_lshrrev_b32_e32 v120, 16, v119
	s_waitcnt lgkmcnt(2)
	v_lshrrev_b32_e32 v73, 16, v41
	v_lshrrev_b32_e32 v72, 16, v42
	s_waitcnt lgkmcnt(1)
	v_lshrrev_b32_e32 v116, 16, v37
	;; [unrolled: 3-line block ×3, first 2 shown]
	v_lshrrev_b32_e32 v118, 16, v40
	v_mov_b32_e32 v43, v41
.LBB0_43:
	s_or_b32 exec_lo, exec_lo, s1
	s_waitcnt lgkmcnt(5)
	v_lshrrev_b32_e32 v41, 16, v48
	s_waitcnt lgkmcnt(4)
	v_lshrrev_b32_e32 v74, 16, v54
	;; [unrolled: 2-line block ×5, first 2 shown]
	v_mul_f16_sdwa v85, v8, v41 dst_sel:DWORD dst_unused:UNUSED_PAD src0_sel:WORD_1 src1_sel:DWORD
	v_mul_f16_sdwa v86, v8, v48 dst_sel:DWORD dst_unused:UNUSED_PAD src0_sel:WORD_1 src1_sel:DWORD
	;; [unrolled: 1-line block ×3, first 2 shown]
	s_waitcnt lgkmcnt(0)
	v_lshrrev_b32_e32 v78, 16, v44
	v_lshrrev_b32_e32 v79, 16, v49
	v_mul_f16_sdwa v88, v9, v54 dst_sel:DWORD dst_unused:UNUSED_PAD src0_sel:WORD_1 src1_sel:DWORD
	v_fmac_f16_e32 v85, v8, v48
	v_fma_f16 v8, v8, v41, -v86
	v_fmac_f16_e32 v87, v9, v54
	v_mul_f16_sdwa v41, v10, v75 dst_sel:DWORD dst_unused:UNUSED_PAD src0_sel:WORD_1 src1_sel:DWORD
	v_mul_f16_sdwa v48, v10, v52 dst_sel:DWORD dst_unused:UNUSED_PAD src0_sel:WORD_1 src1_sel:DWORD
	;; [unrolled: 1-line block ×4, first 2 shown]
	v_lshrrev_b32_e32 v81, 16, v55
	v_lshrrev_b32_e32 v82, 16, v53
	v_fma_f16 v9, v9, v74, -v88
	v_mul_f16_sdwa v74, v11, v50 dst_sel:DWORD dst_unused:UNUSED_PAD src0_sel:WORD_1 src1_sel:DWORD
	v_fmac_f16_e32 v41, v10, v52
	v_fma_f16 v10, v10, v75, -v48
	v_fmac_f16_e32 v54, v11, v50
	v_fmac_f16_e32 v86, v35, v46
	v_mul_f16_sdwa v46, v35, v46 dst_sel:DWORD dst_unused:UNUSED_PAD src0_sel:WORD_1 src1_sel:DWORD
	v_mul_f16_sdwa v48, v36, v78 dst_sel:DWORD dst_unused:UNUSED_PAD src0_sel:WORD_1 src1_sel:DWORD
	;; [unrolled: 1-line block ×4, first 2 shown]
	v_lshrrev_b32_e32 v83, 16, v51
	v_lshrrev_b32_e32 v84, 16, v47
	;; [unrolled: 1-line block ×3, first 2 shown]
	v_fma_f16 v11, v11, v76, -v74
	v_mul_f16_sdwa v74, v4, v49 dst_sel:DWORD dst_unused:UNUSED_PAD src0_sel:WORD_1 src1_sel:DWORD
	v_fma_f16 v35, v35, v77, -v46
	v_fmac_f16_e32 v48, v36, v44
	v_fma_f16 v36, v36, v78, -v50
	v_fmac_f16_e32 v52, v4, v49
	v_mul_f16_sdwa v44, v5, v81 dst_sel:DWORD dst_unused:UNUSED_PAD src0_sel:WORD_1 src1_sel:DWORD
	v_mul_f16_sdwa v46, v5, v55 dst_sel:DWORD dst_unused:UNUSED_PAD src0_sel:WORD_1 src1_sel:DWORD
	;; [unrolled: 1-line block ×4, first 2 shown]
	v_fma_f16 v4, v4, v79, -v74
	v_mul_f16_sdwa v74, v7, v83 dst_sel:DWORD dst_unused:UNUSED_PAD src0_sel:WORD_1 src1_sel:DWORD
	v_fmac_f16_e32 v44, v5, v55
	v_fma_f16 v5, v5, v81, -v46
	v_fmac_f16_e32 v49, v6, v53
	v_fma_f16 v6, v6, v82, -v50
	v_mul_f16_sdwa v46, v7, v51 dst_sel:DWORD dst_unused:UNUSED_PAD src0_sel:WORD_1 src1_sel:DWORD
	v_mul_f16_sdwa v50, v33, v84 dst_sel:DWORD dst_unused:UNUSED_PAD src0_sel:WORD_1 src1_sel:DWORD
	;; [unrolled: 1-line block ×3, first 2 shown]
	v_fmac_f16_e32 v74, v7, v51
	v_mul_f16_sdwa v51, v33, v47 dst_sel:DWORD dst_unused:UNUSED_PAD src0_sel:WORD_1 src1_sel:DWORD
	v_mul_f16_sdwa v55, v34, v45 dst_sel:DWORD dst_unused:UNUSED_PAD src0_sel:WORD_1 src1_sel:DWORD
	v_fma_f16 v7, v7, v83, -v46
	v_fmac_f16_e32 v50, v33, v47
	v_fmac_f16_e32 v53, v34, v45
	v_add_f16_e32 v45, v85, v48
	v_add_f16_e32 v46, v8, v36
	v_sub_f16_e32 v47, v85, v48
	v_sub_f16_e32 v8, v8, v36
	v_add_f16_e32 v36, v87, v86
	v_add_f16_e32 v48, v9, v35
	v_fma_f16 v33, v33, v84, -v51
	v_fma_f16 v34, v34, v89, -v55
	v_sub_f16_e32 v51, v87, v86
	v_sub_f16_e32 v9, v9, v35
	v_add_f16_e32 v35, v41, v54
	v_add_f16_e32 v55, v10, v11
	v_sub_f16_e32 v41, v54, v41
	v_sub_f16_e32 v10, v11, v10
	v_add_f16_e32 v11, v36, v45
	v_add_f16_e32 v54, v48, v46
	v_sub_f16_e32 v75, v36, v45
	v_sub_f16_e32 v76, v48, v46
	;; [unrolled: 1-line block ×6, first 2 shown]
	v_add_f16_e32 v77, v41, v51
	v_add_f16_e32 v78, v10, v9
	v_sub_f16_e32 v79, v41, v51
	v_sub_f16_e32 v81, v10, v9
	;; [unrolled: 1-line block ×3, first 2 shown]
	v_add_f16_e32 v11, v35, v11
	v_add_f16_e32 v35, v55, v54
	v_sub_f16_e32 v9, v9, v8
	v_sub_f16_e32 v41, v47, v41
	;; [unrolled: 1-line block ×3, first 2 shown]
	v_add_f16_e32 v47, v77, v47
	v_add_f16_e32 v8, v78, v8
	;; [unrolled: 1-line block ×3, first 2 shown]
	v_add_f16_sdwa v31, v31, v35 dst_sel:DWORD dst_unused:UNUSED_PAD src0_sel:WORD_1 src1_sel:DWORD
	v_mul_f16_e32 v45, 0x3a52, v45
	v_mul_f16_e32 v46, 0x3a52, v46
	;; [unrolled: 1-line block ×8, first 2 shown]
	v_fmamk_f16 v11, v11, 0xbcab, v54
	v_fmamk_f16 v35, v35, 0xbcab, v31
	;; [unrolled: 1-line block ×4, first 2 shown]
	v_fma_f16 v55, v75, 0x39e0, -v55
	v_fma_f16 v77, v76, 0x39e0, -v77
	;; [unrolled: 1-line block ×4, first 2 shown]
	v_fmamk_f16 v75, v41, 0xb574, v78
	v_fmamk_f16 v76, v10, 0xb574, v79
	v_fma_f16 v41, v41, 0x3574, -v81
	v_fma_f16 v10, v10, 0x3574, -v82
	;; [unrolled: 1-line block ×4, first 2 shown]
	v_add_f16_e32 v36, v36, v11
	v_add_f16_e32 v48, v48, v35
	;; [unrolled: 1-line block ×6, first 2 shown]
	v_fmac_f16_e32 v75, 0xb70e, v47
	v_fmac_f16_e32 v76, 0xb70e, v8
	v_fmac_f16_e32 v10, 0xb70e, v8
	v_fmac_f16_e32 v41, 0xb70e, v47
	v_fmac_f16_e32 v51, 0xb70e, v47
	v_fmac_f16_e32 v9, 0xb70e, v8
	v_add_f16_e32 v8, v76, v36
	v_sub_f16_e32 v45, v48, v75
	v_add_f16_e32 v46, v10, v11
	v_sub_f16_e32 v47, v35, v41
	v_sub_f16_e32 v10, v11, v10
	v_add_f16_e32 v11, v41, v35
	v_sub_f16_e32 v35, v36, v76
	v_add_f16_e32 v36, v75, v48
	v_add_f16_e32 v41, v52, v53
	;; [unrolled: 1-line block ×3, first 2 shown]
	v_sub_f16_e32 v52, v52, v53
	v_sub_f16_e32 v4, v4, v34
	v_add_f16_e32 v34, v44, v50
	v_add_f16_e32 v53, v5, v33
	v_sub_f16_e32 v78, v55, v9
	v_add_f16_e32 v9, v9, v55
	v_sub_f16_e32 v44, v44, v50
	v_sub_f16_e32 v5, v5, v33
	v_add_f16_e32 v33, v49, v74
	v_add_f16_e32 v50, v6, v7
	v_sub_f16_e32 v49, v74, v49
	v_sub_f16_e32 v6, v7, v6
	v_add_f16_e32 v7, v34, v41
	v_add_f16_e32 v55, v53, v48
	;; [unrolled: 1-line block ×3, first 2 shown]
	v_sub_f16_e32 v51, v77, v51
	v_sub_f16_e32 v74, v34, v41
	;; [unrolled: 1-line block ×7, first 2 shown]
	v_add_f16_e32 v76, v49, v44
	v_add_f16_e32 v77, v6, v5
	v_sub_f16_e32 v81, v49, v44
	v_sub_f16_e32 v82, v6, v5
	v_add_f16_e32 v7, v33, v7
	v_add_f16_e32 v33, v50, v55
	v_sub_f16_e32 v44, v44, v52
	v_sub_f16_e32 v5, v5, v4
	;; [unrolled: 1-line block ×4, first 2 shown]
	v_add_f16_e32 v50, v76, v52
	v_add_f16_e32 v4, v77, v4
	;; [unrolled: 1-line block ×3, first 2 shown]
	v_add_f16_sdwa v32, v32, v33 dst_sel:DWORD dst_unused:UNUSED_PAD src0_sel:WORD_1 src1_sel:DWORD
	v_mul_f16_e32 v41, 0x3a52, v41
	v_mul_f16_e32 v48, 0x3a52, v48
	;; [unrolled: 1-line block ×8, first 2 shown]
	v_fmamk_f16 v7, v7, 0xbcab, v52
	v_fmamk_f16 v33, v33, 0xbcab, v32
	;; [unrolled: 1-line block ×4, first 2 shown]
	v_fma_f16 v55, v74, 0x39e0, -v55
	v_fma_f16 v76, v75, 0x39e0, -v76
	;; [unrolled: 1-line block ×4, first 2 shown]
	v_fmamk_f16 v74, v49, 0xb574, v77
	v_fmamk_f16 v75, v6, 0xb574, v81
	v_fma_f16 v44, v44, 0xbb00, -v77
	v_fma_f16 v5, v5, 0xbb00, -v81
	;; [unrolled: 1-line block ×4, first 2 shown]
	v_add_f16_e32 v34, v34, v7
	v_add_f16_e32 v53, v53, v33
	v_fmac_f16_e32 v74, 0xb70e, v50
	v_fmac_f16_e32 v75, 0xb70e, v4
	v_add_f16_e32 v55, v55, v7
	v_add_f16_e32 v76, v76, v33
	;; [unrolled: 1-line block ×4, first 2 shown]
	v_fmac_f16_e32 v44, 0xb70e, v50
	v_fmac_f16_e32 v6, 0xb70e, v4
	;; [unrolled: 1-line block ×4, first 2 shown]
	v_pack_b32_f16 v31, v54, v31
	v_pack_b32_f16 v8, v8, v45
	v_add_f16_e32 v4, v75, v34
	v_sub_f16_e32 v41, v53, v74
	v_pack_b32_f16 v45, v46, v47
	v_pack_b32_f16 v46, v78, v79
	v_add_f16_e32 v48, v6, v7
	v_sub_f16_e32 v50, v33, v49
	v_sub_f16_e32 v77, v55, v5
	v_add_f16_e32 v81, v44, v76
	v_pack_b32_f16 v9, v9, v51
	v_pack_b32_f16 v10, v10, v11
	v_add_f16_e32 v5, v5, v55
	v_sub_f16_e32 v44, v76, v44
	v_sub_f16_e32 v6, v7, v6
	v_add_f16_e32 v7, v49, v33
	v_sub_f16_e32 v33, v34, v75
	v_add_f16_e32 v34, v74, v53
	s_barrier
	buffer_gl0_inv
	ds_write2_b32 v114, v31, v8 offset1:48
	ds_write2_b32 v114, v45, v46 offset0:96 offset1:144
	ds_write2_b32 v114, v9, v10 offset0:192 offset1:240
	v_pack_b32_f16 v8, v35, v36
	v_pack_b32_f16 v9, v52, v32
	;; [unrolled: 1-line block ×8, first 2 shown]
	ds_write_b32 v114, v8 offset:1152
	ds_write2_b32 v113, v9, v4 offset1:48
	ds_write2_b32 v113, v10, v11 offset0:96 offset1:144
	ds_write2_b32 v113, v5, v6 offset0:192 offset1:240
	ds_write_b32 v113, v7 offset:1152
	s_and_saveexec_b32 s1, s0
	s_cbranch_execz .LBB0_45
; %bb.44:
	v_mul_f16_sdwa v4, v0, v72 dst_sel:DWORD dst_unused:UNUSED_PAD src0_sel:WORD_1 src1_sel:DWORD
	v_mul_f16_sdwa v7, v1, v116 dst_sel:DWORD dst_unused:UNUSED_PAD src0_sel:WORD_1 src1_sel:DWORD
	;; [unrolled: 1-line block ×10, first 2 shown]
	v_fmac_f16_e32 v7, v1, v37
	v_fmac_f16_e32 v8, v29, v40
	;; [unrolled: 1-line block ×4, first 2 shown]
	v_fma_f16 v30, v30, v120, -v31
	v_fma_f16 v0, v0, v72, -v34
	v_mul_f16_sdwa v34, v2, v38 dst_sel:DWORD dst_unused:UNUSED_PAD src0_sel:WORD_1 src1_sel:DWORD
	v_mul_f16_sdwa v37, v3, v39 dst_sel:DWORD dst_unused:UNUSED_PAD src0_sel:WORD_1 src1_sel:DWORD
	v_fma_f16 v29, v29, v118, -v35
	v_fma_f16 v1, v1, v116, -v36
	v_fmac_f16_e32 v5, v3, v39
	v_fmac_f16_e32 v6, v2, v38
	v_add_f16_e32 v35, v30, v0
	v_fma_f16 v2, v2, v115, -v34
	v_fma_f16 v3, v3, v117, -v37
	v_add_f16_e32 v34, v29, v1
	v_sub_f16_e32 v11, v7, v8
	v_sub_f16_e32 v32, v4, v9
	v_add_f16_e32 v4, v9, v4
	v_add_f16_e32 v37, v2, v3
	;; [unrolled: 1-line block ×4, first 2 shown]
	v_sub_f16_e32 v10, v5, v6
	v_add_f16_e32 v5, v6, v5
	v_sub_f16_e32 v39, v35, v37
	v_add_f16_e32 v38, v37, v38
	;; [unrolled: 2-line block ×3, first 2 shown]
	v_sub_f16_e32 v40, v4, v5
	v_sub_f16_e32 v2, v3, v2
	;; [unrolled: 1-line block ×4, first 2 shown]
	v_add_f16_e32 v37, v5, v37
	v_sub_f16_e32 v33, v10, v11
	v_sub_f16_e32 v31, v32, v10
	v_add_f16_e32 v10, v10, v11
	v_mul_f16_e32 v3, 0x3a52, v40
	v_sub_f16_e32 v5, v5, v7
	v_add_f16_e32 v29, v43, v37
	v_sub_f16_e32 v30, v2, v1
	v_sub_f16_e32 v11, v11, v32
	v_mul_f16_e32 v9, 0x3a52, v39
	v_sub_f16_e32 v41, v0, v2
	v_add_f16_e32 v2, v2, v1
	v_sub_f16_e32 v34, v34, v35
	v_sub_f16_e32 v1, v1, v0
	v_mul_f16_e32 v33, 0x3846, v33
	v_add_f16_e32 v6, v73, v38
	v_mul_f16_e32 v39, 0x2b26, v8
	v_fmamk_f16 v40, v5, 0x2b26, v3
	v_fmamk_f16 v37, v37, 0xbcab, v29
	v_mul_f16_e32 v30, 0x3846, v30
	v_mul_f16_e32 v43, 0xbb00, v11
	v_fmamk_f16 v8, v8, 0x2b26, v9
	v_mul_f16_e32 v5, 0x2b26, v5
	v_sub_f16_e32 v4, v7, v4
	v_fma_f16 v7, v34, 0xb9e0, -v9
	v_mul_f16_e32 v9, 0xbb00, v1
	v_fmamk_f16 v36, v31, 0xb574, v33
	v_add_f16_e32 v10, v10, v32
	v_fmamk_f16 v38, v38, 0xbcab, v6
	v_add_f16_e32 v32, v40, v37
	;; [unrolled: 2-line block ×3, first 2 shown]
	v_fma_f16 v2, v31, 0x3574, -v43
	v_fma_f16 v31, v34, 0x39e0, -v39
	;; [unrolled: 1-line block ×7, first 2 shown]
	v_fmac_f16_e32 v36, 0xb70e, v10
	v_add_f16_e32 v8, v8, v38
	v_fmac_f16_e32 v40, 0xb70e, v0
	v_fmac_f16_e32 v2, 0xb70e, v10
	v_add_f16_e32 v7, v7, v38
	v_add_f16_e32 v5, v31, v38
	v_fmac_f16_e32 v11, 0xb70e, v10
	v_mov_b32_e32 v34, 2
	v_add_f16_e32 v3, v3, v37
	v_fmac_f16_e32 v9, 0xb70e, v0
	v_fmac_f16_e32 v1, 0xb70e, v0
	v_add_f16_e32 v0, v4, v37
	v_add_f16_e32 v42, v36, v8
	;; [unrolled: 1-line block ×3, first 2 shown]
	v_sub_f16_e32 v31, v5, v11
	v_add_f16_e32 v5, v11, v5
	v_sub_f16_e32 v2, v7, v2
	v_sub_f16_e32 v7, v8, v36
	v_add_f16_e32 v8, v40, v32
	v_lshlrev_b32_sdwa v11, v34, v80 dst_sel:DWORD dst_unused:UNUSED_PAD src0_sel:DWORD src1_sel:WORD_0
	v_sub_f16_e32 v30, v3, v9
	v_add_f16_e32 v33, v1, v0
	v_add_f16_e32 v3, v9, v3
	v_sub_f16_e32 v0, v0, v1
	v_sub_f16_e32 v4, v32, v40
	v_pack_b32_f16 v1, v29, v6
	v_pack_b32_f16 v6, v8, v7
	v_add_nc_u32_e32 v7, 0x1400, v11
	v_pack_b32_f16 v2, v3, v2
	v_pack_b32_f16 v0, v0, v5
	;; [unrolled: 1-line block ×4, first 2 shown]
	v_add_nc_u32_e32 v8, 0x1800, v11
	v_pack_b32_f16 v4, v4, v42
	ds_write2_b32 v7, v1, v6 offset0:64 offset1:112
	ds_write2_b32 v7, v2, v0 offset0:160 offset1:208
	ds_write2_b32 v8, v3, v5 offset1:48
	ds_write_b32 v11, v4 offset:6528
.LBB0_45:
	s_or_b32 exec_lo, exec_lo, s1
	v_add_nc_u32_e32 v4, 0x200, v56
	v_add_nc_u32_e32 v0, 0xa00, v56
	;; [unrolled: 1-line block ×3, first 2 shown]
	s_waitcnt lgkmcnt(0)
	s_barrier
	buffer_gl0_inv
	ds_read2_b32 v[7:8], v4 offset0:96 offset1:208
	v_add_nc_u32_e32 v2, 0x1400, v56
	ds_read2_b32 v[9:10], v0 offset0:32 offset1:144
	v_add_nc_u32_e32 v3, 0x600, v56
	v_add_nc_u32_e32 v11, 0x1000, v56
	ds_read2_b32 v[5:6], v56 offset1:112
	ds_read2_b32 v[29:30], v1 offset0:128 offset1:240
	ds_read2_b32 v[31:32], v2 offset0:64 offset1:176
	;; [unrolled: 1-line block ×4, first 2 shown]
	ds_read_b32 v1, v56 offset:6272
	s_mov_b32 s4, 0x13813814
	s_mov_b32 s5, 0x3f438138
	s_waitcnt lgkmcnt(7)
	v_lshrrev_b32_e32 v38, 16, v8
	v_mul_f16_sdwa v52, v20, v8 dst_sel:DWORD dst_unused:UNUSED_PAD src0_sel:WORD_1 src1_sel:DWORD
	s_waitcnt lgkmcnt(6)
	v_lshrrev_b32_e32 v39, 16, v9
	s_waitcnt lgkmcnt(4)
	v_lshrrev_b32_e32 v40, 16, v30
	;; [unrolled: 2-line block ×4, first 2 shown]
	v_mul_f16_sdwa v51, v20, v38 dst_sel:DWORD dst_unused:UNUSED_PAD src0_sel:WORD_1 src1_sel:DWORD
	v_mul_f16_sdwa v53, v21, v39 dst_sel:DWORD dst_unused:UNUSED_PAD src0_sel:WORD_1 src1_sel:DWORD
	;; [unrolled: 1-line block ×4, first 2 shown]
	v_lshrrev_b32_e32 v43, 16, v10
	s_waitcnt lgkmcnt(1)
	v_lshrrev_b32_e32 v44, 16, v35
	v_fmac_f16_e32 v51, v20, v8
	v_fma_f16 v8, v20, v38, -v52
	v_fmac_f16_e32 v53, v21, v9
	v_fma_f16 v9, v21, v39, -v54
	v_fmac_f16_e32 v55, v22, v30
	v_mul_f16_sdwa v20, v22, v30 dst_sel:DWORD dst_unused:UNUSED_PAD src0_sel:WORD_1 src1_sel:DWORD
	v_mul_f16_sdwa v21, v23, v41 dst_sel:DWORD dst_unused:UNUSED_PAD src0_sel:WORD_1 src1_sel:DWORD
	;; [unrolled: 1-line block ×4, first 2 shown]
	v_lshrrev_b32_e32 v45, 16, v32
	v_mul_f16_sdwa v39, v16, v33 dst_sel:DWORD dst_unused:UNUSED_PAD src0_sel:WORD_1 src1_sel:DWORD
	v_fma_f16 v20, v22, v40, -v20
	v_fmac_f16_e32 v21, v23, v31
	v_fma_f16 v22, v23, v41, -v30
	v_fmac_f16_e32 v38, v16, v33
	v_mul_f16_sdwa v23, v17, v43 dst_sel:DWORD dst_unused:UNUSED_PAD src0_sel:WORD_1 src1_sel:DWORD
	v_mul_f16_sdwa v30, v17, v10 dst_sel:DWORD dst_unused:UNUSED_PAD src0_sel:WORD_1 src1_sel:DWORD
	;; [unrolled: 1-line block ×4, first 2 shown]
	v_lshrrev_b32_e32 v47, 16, v34
	v_lshrrev_b32_e32 v48, 16, v29
	v_fma_f16 v16, v16, v42, -v39
	v_mul_f16_sdwa v39, v19, v45 dst_sel:DWORD dst_unused:UNUSED_PAD src0_sel:WORD_1 src1_sel:DWORD
	v_fmac_f16_e32 v23, v17, v10
	v_fma_f16 v10, v17, v43, -v30
	v_fmac_f16_e32 v31, v18, v35
	v_fma_f16 v17, v18, v44, -v33
	v_mul_f16_sdwa v18, v19, v32 dst_sel:DWORD dst_unused:UNUSED_PAD src0_sel:WORD_1 src1_sel:DWORD
	v_lshrrev_b32_e32 v49, 16, v36
	v_fmac_f16_e32 v39, v19, v32
	v_mul_f16_sdwa v30, v12, v47 dst_sel:DWORD dst_unused:UNUSED_PAD src0_sel:WORD_1 src1_sel:DWORD
	v_mul_f16_sdwa v32, v12, v34 dst_sel:DWORD dst_unused:UNUSED_PAD src0_sel:WORD_1 src1_sel:DWORD
	;; [unrolled: 1-line block ×4, first 2 shown]
	v_fma_f16 v18, v19, v45, -v18
	v_add_f16_e32 v19, v53, v55
	s_waitcnt lgkmcnt(0)
	v_lshrrev_b32_e32 v50, 16, v1
	v_fmac_f16_e32 v30, v12, v34
	v_fma_f16 v12, v12, v47, -v32
	v_fmac_f16_e32 v33, v13, v29
	v_fma_f16 v13, v13, v48, -v35
	v_mul_f16_sdwa v29, v14, v49 dst_sel:DWORD dst_unused:UNUSED_PAD src0_sel:WORD_1 src1_sel:DWORD
	v_mul_f16_sdwa v32, v14, v36 dst_sel:DWORD dst_unused:UNUSED_PAD src0_sel:WORD_1 src1_sel:DWORD
	v_add_f16_e32 v35, v5, v51
	v_fma_f16 v19, -0.5, v19, v5
	v_sub_f16_e32 v40, v8, v22
	v_lshrrev_b32_e32 v11, 16, v5
	v_mul_f16_sdwa v34, v15, v50 dst_sel:DWORD dst_unused:UNUSED_PAD src0_sel:WORD_1 src1_sel:DWORD
	v_fmac_f16_e32 v29, v14, v36
	v_fma_f16 v14, v14, v49, -v32
	v_add_f16_e32 v32, v35, v53
	v_fmamk_f16 v35, v40, 0xbb9c, v19
	v_sub_f16_e32 v36, v9, v20
	v_sub_f16_e32 v41, v51, v53
	;; [unrolled: 1-line block ×3, first 2 shown]
	v_add_f16_e32 v43, v51, v21
	v_fmac_f16_e32 v19, 0x3b9c, v40
	v_fmac_f16_e32 v34, v15, v1
	v_mul_f16_sdwa v1, v15, v1 dst_sel:DWORD dst_unused:UNUSED_PAD src0_sel:WORD_1 src1_sel:DWORD
	v_add_f16_e32 v32, v32, v55
	v_fmac_f16_e32 v35, 0xb8b4, v36
	v_add_f16_e32 v41, v41, v42
	v_fma_f16 v5, -0.5, v43, v5
	v_sub_f16_e32 v42, v53, v51
	v_sub_f16_e32 v43, v55, v21
	v_fmac_f16_e32 v19, 0x38b4, v36
	v_add_f16_e32 v44, v11, v8
	v_add_f16_e32 v45, v9, v20
	v_fma_f16 v1, v15, v50, -v1
	v_add_f16_e32 v15, v32, v21
	v_fmac_f16_e32 v35, 0x34f2, v41
	v_fmamk_f16 v32, v36, 0x3b9c, v5
	v_add_f16_e32 v42, v42, v43
	v_fmac_f16_e32 v5, 0xbb9c, v36
	v_add_f16_e32 v36, v44, v9
	v_fma_f16 v43, -0.5, v45, v11
	v_sub_f16_e32 v21, v51, v21
	v_fmac_f16_e32 v19, 0x34f2, v41
	v_add_f16_e32 v41, v8, v22
	v_sub_f16_e32 v45, v8, v9
	v_sub_f16_e32 v8, v9, v8
	;; [unrolled: 1-line block ×3, first 2 shown]
	v_fmac_f16_e32 v32, 0xb8b4, v40
	v_fmac_f16_e32 v5, 0x38b4, v40
	v_add_f16_e32 v36, v36, v20
	v_fmamk_f16 v40, v21, 0x3b9c, v43
	v_sub_f16_e32 v44, v53, v55
	v_sub_f16_e32 v47, v22, v20
	v_fmac_f16_e32 v11, -0.5, v41
	v_fmac_f16_e32 v43, 0xbb9c, v21
	v_add_f16_e32 v20, v23, v31
	v_add_f16_e32 v8, v8, v9
	;; [unrolled: 1-line block ×3, first 2 shown]
	v_lshrrev_b32_e32 v37, 16, v6
	v_fmac_f16_e32 v32, 0x34f2, v42
	v_fmac_f16_e32 v5, 0x34f2, v42
	v_add_f16_e32 v36, v36, v22
	v_fmac_f16_e32 v40, 0x38b4, v44
	v_add_f16_e32 v41, v45, v47
	v_fmamk_f16 v42, v44, 0xbb9c, v11
	v_fmac_f16_e32 v43, 0xb8b4, v44
	v_fma_f16 v20, -0.5, v20, v6
	v_sub_f16_e32 v22, v16, v18
	v_fmac_f16_e32 v11, 0x3b9c, v44
	v_add_f16_e32 v9, v9, v23
	v_sub_f16_e32 v45, v38, v23
	v_sub_f16_e32 v47, v39, v31
	v_add_f16_e32 v48, v38, v39
	v_fmac_f16_e32 v40, 0x34f2, v41
	v_fmac_f16_e32 v42, 0x38b4, v21
	;; [unrolled: 1-line block ×3, first 2 shown]
	v_fmamk_f16 v41, v22, 0xbb9c, v20
	v_sub_f16_e32 v44, v10, v17
	v_fmac_f16_e32 v11, 0xb8b4, v21
	v_add_f16_e32 v9, v9, v31
	v_add_f16_e32 v21, v45, v47
	v_fmac_f16_e32 v6, -0.5, v48
	v_fmac_f16_e32 v20, 0x3b9c, v22
	v_sub_f16_e32 v45, v23, v38
	v_sub_f16_e32 v47, v31, v39
	v_add_f16_e32 v48, v37, v16
	v_add_f16_e32 v49, v10, v17
	v_fmac_f16_e32 v42, 0x34f2, v8
	v_fmac_f16_e32 v41, 0xb8b4, v44
	;; [unrolled: 1-line block ×3, first 2 shown]
	v_add_f16_e32 v8, v9, v39
	v_fmamk_f16 v9, v44, 0x3b9c, v6
	v_fmac_f16_e32 v20, 0x38b4, v44
	v_add_f16_e32 v45, v45, v47
	v_fmac_f16_e32 v6, 0xbb9c, v44
	v_add_f16_e32 v44, v48, v10
	v_fma_f16 v47, -0.5, v49, v37
	v_sub_f16_e32 v38, v38, v39
	v_add_f16_e32 v39, v16, v18
	v_fmac_f16_e32 v41, 0x34f2, v21
	v_fmac_f16_e32 v9, 0xb8b4, v22
	;; [unrolled: 1-line block ×4, first 2 shown]
	v_add_f16_e32 v21, v44, v17
	v_fmamk_f16 v22, v38, 0x3b9c, v47
	v_sub_f16_e32 v23, v23, v31
	v_sub_f16_e32 v31, v16, v10
	;; [unrolled: 1-line block ×3, first 2 shown]
	v_fmac_f16_e32 v37, -0.5, v39
	v_fmac_f16_e32 v47, 0xbb9c, v38
	v_sub_f16_e32 v10, v10, v16
	v_sub_f16_e32 v16, v17, v18
	v_add_f16_e32 v17, v33, v29
	v_add_f16_e32 v21, v21, v18
	v_fmac_f16_e32 v22, 0x38b4, v23
	v_add_f16_e32 v31, v31, v44
	v_fmamk_f16 v39, v23, 0xbb9c, v37
	v_fmac_f16_e32 v47, 0xb8b4, v23
	v_add_f16_e32 v10, v10, v16
	v_fmac_f16_e32 v37, 0x3b9c, v23
	v_add_f16_e32 v16, v7, v30
	v_fma_f16 v17, -0.5, v17, v7
	v_sub_f16_e32 v18, v12, v1
	v_fmac_f16_e32 v9, 0x34f2, v45
	v_fmac_f16_e32 v6, 0x34f2, v45
	;; [unrolled: 1-line block ×6, first 2 shown]
	v_add_f16_e32 v16, v16, v33
	v_fmamk_f16 v23, v18, 0xbb9c, v17
	v_sub_f16_e32 v31, v13, v14
	v_sub_f16_e32 v38, v30, v33
	;; [unrolled: 1-line block ×3, first 2 shown]
	v_fmac_f16_e32 v17, 0x3b9c, v18
	v_add_f16_e32 v45, v30, v34
	v_lshrrev_b32_e32 v46, 16, v7
	v_add_f16_e32 v16, v16, v29
	v_fmac_f16_e32 v23, 0xb8b4, v31
	v_add_f16_e32 v38, v38, v44
	v_fmac_f16_e32 v17, 0x38b4, v31
	v_fmac_f16_e32 v7, -0.5, v45
	v_sub_f16_e32 v44, v33, v30
	v_sub_f16_e32 v45, v29, v34
	v_fmac_f16_e32 v39, 0x34f2, v10
	v_fmac_f16_e32 v37, 0x34f2, v10
	v_add_f16_e32 v10, v16, v34
	v_fmac_f16_e32 v23, 0x34f2, v38
	v_fmac_f16_e32 v17, 0x34f2, v38
	v_add_f16_e32 v38, v13, v14
	v_sub_f16_e32 v30, v30, v34
	v_add_f16_e32 v34, v44, v45
	v_add_f16_e32 v44, v12, v1
	v_fmamk_f16 v16, v31, 0x3b9c, v7
	v_fmac_f16_e32 v7, 0xbb9c, v31
	v_add_f16_e32 v31, v46, v12
	v_fma_f16 v38, -0.5, v38, v46
	v_sub_f16_e32 v29, v33, v29
	v_fmac_f16_e32 v46, -0.5, v44
	v_fmac_f16_e32 v16, 0xb8b4, v18
	v_fmac_f16_e32 v7, 0x38b4, v18
	v_add_f16_e32 v18, v31, v13
	v_sub_f16_e32 v33, v12, v13
	v_fmamk_f16 v44, v29, 0xbb9c, v46
	v_sub_f16_e32 v12, v13, v12
	v_sub_f16_e32 v13, v14, v1
	v_fmac_f16_e32 v46, 0x3b9c, v29
	v_fmamk_f16 v31, v30, 0x3b9c, v38
	v_fmac_f16_e32 v16, 0x34f2, v34
	v_fmac_f16_e32 v7, 0x34f2, v34
	v_sub_f16_e32 v34, v1, v14
	v_fmac_f16_e32 v38, 0xbb9c, v30
	v_fmac_f16_e32 v44, 0x38b4, v30
	v_add_f16_e32 v12, v12, v13
	v_fmac_f16_e32 v46, 0xb8b4, v30
	v_add_f16_e32 v18, v18, v14
	;; [unrolled: 2-line block ×3, first 2 shown]
	v_fmac_f16_e32 v38, 0xb8b4, v29
	v_fmac_f16_e32 v44, 0x34f2, v12
	;; [unrolled: 1-line block ×3, first 2 shown]
	v_pack_b32_f16 v12, v35, v40
	v_pack_b32_f16 v13, v32, v42
	;; [unrolled: 1-line block ×3, first 2 shown]
	v_add_f16_e32 v1, v18, v1
	v_fmac_f16_e32 v31, 0x34f2, v14
	v_fmac_f16_e32 v38, 0x34f2, v14
	v_pack_b32_f16 v11, v15, v36
	v_pack_b32_f16 v14, v19, v43
	ds_write_b32 v56, v12 offset:1344
	ds_write_b32 v56, v13 offset:2688
	;; [unrolled: 1-line block ×3, first 2 shown]
	v_pack_b32_f16 v5, v8, v21
	v_pack_b32_f16 v8, v9, v39
	;; [unrolled: 1-line block ×5, first 2 shown]
	ds_write_b32 v56, v14 offset:5376
	ds_write2_b32 v56, v11, v5 offset1:112
	v_pack_b32_f16 v5, v41, v22
	ds_write_b32 v56, v8 offset:3136
	ds_write_b32 v56, v6 offset:4480
	;; [unrolled: 1-line block ×3, first 2 shown]
	v_pack_b32_f16 v6, v23, v31
	v_pack_b32_f16 v8, v16, v44
	;; [unrolled: 1-line block ×4, first 2 shown]
	ds_write_b32 v56, v1 offset:896
	ds_write2_b32 v3, v5, v6 offset0:64 offset1:176
	ds_write_b32 v56, v8 offset:3584
	ds_write_b32 v56, v7 offset:4928
	;; [unrolled: 1-line block ×3, first 2 shown]
	s_waitcnt lgkmcnt(0)
	s_barrier
	buffer_gl0_inv
	ds_read2_b32 v[5:6], v56 offset1:112
	s_waitcnt lgkmcnt(0)
	v_lshrrev_b32_e32 v1, 16, v5
	v_mul_f16_sdwa v7, v71, v1 dst_sel:DWORD dst_unused:UNUSED_PAD src0_sel:WORD_1 src1_sel:DWORD
	v_fmac_f16_e32 v7, v71, v5
	v_mul_f16_sdwa v5, v71, v5 dst_sel:DWORD dst_unused:UNUSED_PAD src0_sel:WORD_1 src1_sel:DWORD
	v_cvt_f32_f16_e32 v7, v7
	v_fma_f16 v1, v71, v1, -v5
	v_cvt_f64_f32_e32 v[7:8], v7
	v_cvt_f32_f16_e32 v1, v1
	v_cvt_f64_f32_e32 v[9:10], v1
	v_mul_f64 v[7:8], v[7:8], s[4:5]
	v_mul_f64 v[9:10], v[9:10], s[4:5]
	v_and_or_b32 v1, 0x1ff, v8, v7
	v_lshrrev_b32_e32 v7, 8, v8
	v_bfe_u32 v11, v8, 20, 11
	v_cmp_ne_u32_e64 s0, 0, v1
	ds_read2_b32 v[0:1], v0 offset0:32 offset1:200
	v_and_or_b32 v9, 0x1ff, v10, v9
	v_add_nc_u32_e32 v17, 0xfffffc10, v11
	v_bfe_u32 v16, v10, 20, 11
	v_cndmask_b32_e64 v5, 0, 1, s0
	v_and_or_b32 v7, 0xffe, v7, v5
	v_sub_nc_u32_e32 v5, 0x3f1, v11
	v_lshrrev_b32_e32 v11, 8, v10
	v_or_b32_e32 v12, 0x1000, v7
	v_med3_i32 v5, v5, 0, 13
	v_lshrrev_b32_e32 v13, v5, v12
	s_waitcnt lgkmcnt(0)
	v_lshrrev_b32_e32 v15, 16, v1
	v_lshlrev_b32_e32 v5, v5, v13
	v_mul_f16_sdwa v14, v70, v15 dst_sel:DWORD dst_unused:UNUSED_PAD src0_sel:WORD_1 src1_sel:DWORD
	v_cmp_ne_u32_e64 s0, v5, v12
	v_fmac_f16_e32 v14, v70, v1
	v_mul_f16_sdwa v1, v70, v1 dst_sel:DWORD dst_unused:UNUSED_PAD src0_sel:WORD_1 src1_sel:DWORD
	v_cndmask_b32_e64 v5, 0, 1, s0
	v_cmp_ne_u32_e64 s0, 0, v9
	v_cvt_f32_f16_e32 v12, v14
	v_sub_nc_u32_e32 v14, 0x3f1, v16
	v_fma_f16 v1, v70, v15, -v1
	v_or_b32_e32 v5, v13, v5
	v_cndmask_b32_e64 v9, 0, 1, s0
	v_lshl_or_b32 v13, v17, 12, v7
	v_cmp_gt_i32_e64 s0, 1, v17
	v_med3_i32 v19, v14, 0, 13
	v_cvt_f32_f16_e32 v1, v1
	v_and_or_b32 v9, 0xffe, v11, v9
	v_cvt_f64_f32_e32 v[11:12], v12
	v_cndmask_b32_e64 v5, v13, v5, s0
	v_mad_u64_u32 v[13:14], null, s10, v26, 0
	v_or_b32_e32 v18, 0x1000, v9
	v_and_b32_e32 v20, 7, v5
	v_lshrrev_b32_e32 v21, v19, v18
	v_cmp_lt_i32_e64 s0, 5, v20
	v_cmp_eq_u32_e64 s1, 3, v20
	v_lshrrev_b32_e32 v20, 2, v5
	v_lshlrev_b32_e32 v19, v19, v21
	v_mov_b32_e32 v5, v14
	s_or_b32 s0, s1, s0
	v_add_co_ci_u32_e64 v14, s0, 0, v20, s0
	v_cmp_ne_u32_e64 s0, v19, v18
	v_mul_f64 v[11:12], v[11:12], s[4:5]
	v_add_nc_u32_e32 v19, 0xfffffc10, v16
	v_cndmask_b32_e64 v18, 0, 1, s0
	v_cmp_ne_u32_e64 s0, 0, v7
	v_or_b32_e32 v16, v21, v18
	v_cndmask_b32_e64 v7, 0, 1, s0
	v_cmp_gt_i32_e64 s0, 31, v17
	v_lshl_or_b32 v18, v19, 12, v9
	v_lshl_or_b32 v7, v7, 9, 0x7c00
	v_cndmask_b32_e64 v20, 0x7c00, v14, s0
	v_cmp_gt_i32_e64 s0, 1, v19
	v_mad_u64_u32 v[14:15], null, s11, v26, v[5:6]
	v_cndmask_b32_e64 v18, v18, v16, s0
	v_cvt_f64_f32_e32 v[15:16], v1
	v_and_or_b32 v1, 0x1ff, v12, v11
	v_cmp_eq_u32_e64 s0, 0x40f, v17
	v_lshrrev_b32_e32 v11, 8, v12
	v_and_b32_e32 v5, 7, v18
	v_cmp_ne_u32_e64 s2, 0, v1
	v_cndmask_b32_e64 v17, v20, v7, s0
	v_lshrrev_b32_e32 v20, 16, v8
	v_cmp_lt_i32_e64 s0, 5, v5
	v_cmp_eq_u32_e64 s1, 3, v5
	v_lshrrev_b32_e32 v5, 2, v18
	v_cndmask_b32_e64 v1, 0, 1, s2
	v_bfe_u32 v18, v12, 20, 11
	v_mad_u64_u32 v[7:8], null, s8, v69, 0
	s_or_b32 s0, s1, s0
	v_and_or_b32 v11, 0xffe, v11, v1
	v_add_co_ci_u32_e64 v5, s0, 0, v5, s0
	v_sub_nc_u32_e32 v21, 0x3f1, v18
	v_cmp_ne_u32_e64 s0, 0, v9
	v_mul_f64 v[15:16], v[15:16], s[4:5]
	v_mov_b32_e32 v1, v8
	v_or_b32_e32 v22, 0x1000, v11
	v_med3_i32 v21, v21, 0, 13
	v_cndmask_b32_e64 v9, 0, 1, s0
	v_cmp_gt_i32_e64 s0, 31, v19
	v_lshl_or_b32 v23, v9, 9, 0x7c00
	v_cndmask_b32_e64 v5, 0x7c00, v5, s0
	v_mad_u64_u32 v[8:9], null, s9, v69, v[1:2]
	v_lshrrev_b32_e32 v1, v21, v22
	v_cmp_eq_u32_e64 s0, 0x40f, v19
	v_lshrrev_b32_e32 v9, 16, v10
	v_and_or_b32 v10, 0x8000, v20, v17
	v_lshlrev_b32_e32 v17, v21, v1
	v_cndmask_b32_e64 v5, v5, v23, s0
	v_and_or_b32 v15, 0x1ff, v16, v15
	v_cmp_ne_u32_e64 s0, v17, v22
	v_and_or_b32 v5, 0x8000, v9, v5
	v_and_b32_e32 v9, 0xffff, v10
	v_add_nc_u32_e32 v17, 0xfffffc10, v18
	v_lshrrev_b32_e32 v18, 16, v6
	v_cndmask_b32_e64 v10, 0, 1, s0
	v_cmp_ne_u32_e64 s0, 0, v15
	v_lshl_or_b32 v19, v5, 16, v9
	v_lshl_or_b32 v5, v17, 12, v11
	v_mul_f16_sdwa v9, v68, v18 dst_sel:DWORD dst_unused:UNUSED_PAD src0_sel:WORD_1 src1_sel:DWORD
	v_or_b32_e32 v1, v1, v10
	v_cndmask_b32_e64 v10, 0, 1, s0
	v_cmp_gt_i32_e64 s0, 1, v17
	v_lshrrev_b32_e32 v15, 8, v16
	v_fmac_f16_e32 v9, v68, v6
	v_bfe_u32 v20, v16, 20, 11
	v_lshrrev_b32_e32 v16, 16, v16
	v_cndmask_b32_e64 v1, v5, v1, s0
	v_and_or_b32 v15, 0xffe, v15, v10
	v_cvt_f32_f16_e32 v21, v9
	v_lshlrev_b64 v[9:10], 2, v[13:14]
	v_sub_nc_u32_e32 v5, 0x3f1, v20
	v_and_b32_e32 v22, 7, v1
	v_or_b32_e32 v23, 0x1000, v15
	v_cvt_f64_f32_e32 v[13:14], v21
	v_lshrrev_b32_e32 v1, 2, v1
	v_add_co_u32 v21, s0, s6, v9
	v_med3_i32 v26, v5, 0, 13
	v_add_co_ci_u32_e64 v29, s0, s7, v10, s0
	v_cmp_lt_i32_e64 s0, 5, v22
	v_mul_f16_sdwa v9, v68, v6 dst_sel:DWORD dst_unused:UNUSED_PAD src0_sel:WORD_1 src1_sel:DWORD
	v_cmp_eq_u32_e64 s1, 3, v22
	v_lshrrev_b32_e32 v30, v26, v23
	v_lshlrev_b64 v[5:6], 2, v[7:8]
	s_mul_i32 s6, s8, 0x348
	v_fma_f16 v7, v68, v18, -v9
	s_or_b32 s0, s1, s0
	v_lshlrev_b32_e32 v8, v26, v30
	v_add_co_ci_u32_e64 v1, s0, 0, v1, s0
	v_cmp_ne_u32_e64 s0, 0, v11
	v_cvt_f32_f16_e32 v7, v7
	v_mul_f64 v[9:10], v[13:14], s[4:5]
	v_cndmask_b32_e64 v11, 0, 1, s0
	v_cmp_ne_u32_e64 s0, v8, v23
	v_cvt_f64_f32_e32 v[7:8], v7
	v_add_nc_u32_e32 v13, 0xfffffc10, v20
	v_lshl_or_b32 v11, v11, 9, 0x7c00
	v_cndmask_b32_e64 v18, 0, 1, s0
	v_cmp_gt_i32_e64 s0, 31, v17
	v_or_b32_e32 v14, v30, v18
	v_cndmask_b32_e64 v1, 0x7c00, v1, s0
	v_add_co_u32 v5, s0, v21, v5
	v_add_co_ci_u32_e64 v6, s0, v29, v6, s0
	v_lshl_or_b32 v18, v13, 12, v15
	v_cmp_gt_i32_e64 s0, 1, v13
	global_store_dword v[5:6], v19, off
	v_and_or_b32 v9, 0x1ff, v10, v9
	v_cndmask_b32_e64 v14, v18, v14, s0
	v_cmp_eq_u32_e64 s0, 0x40f, v17
	v_mul_f64 v[7:8], v[7:8], s[4:5]
	v_cmp_ne_u32_e64 s2, 0, v9
	v_bfe_u32 v18, v10, 20, 11
	v_and_b32_e32 v17, 7, v14
	v_cndmask_b32_e64 v1, v1, v11, s0
	v_lshrrev_b32_e32 v11, 16, v12
	v_add_nc_u32_e32 v12, 0xe00, v56
	v_lshrrev_b32_e32 v14, 2, v14
	v_cmp_lt_i32_e64 s0, 5, v17
	v_cmp_eq_u32_e64 s1, 3, v17
	v_and_or_b32 v1, 0x8000, v11, v1
	ds_read2_b32 v[11:12], v12 offset0:56 offset1:168
	v_cndmask_b32_e64 v9, 0, 1, s2
	v_lshrrev_b32_e32 v17, 8, v10
	s_or_b32 s0, s1, s0
	v_and_b32_e32 v1, 0xffff, v1
	v_add_co_ci_u32_e64 v14, s0, 0, v14, s0
	v_cmp_ne_u32_e64 s0, 0, v15
	v_and_or_b32 v9, 0xffe, v17, v9
	v_sub_nc_u32_e32 v17, 0x3f1, v18
	v_add_nc_u32_e32 v18, 0xfffffc10, v18
	v_and_or_b32 v7, 0x1ff, v8, v7
	v_cndmask_b32_e64 v15, 0, 1, s0
	v_cmp_gt_i32_e64 s0, 31, v13
	v_or_b32_e32 v19, 0x1000, v9
	v_med3_i32 v17, v17, 0, 13
	v_lshrrev_b32_e32 v21, 8, v8
	v_lshl_or_b32 v15, v15, 9, 0x7c00
	v_cndmask_b32_e64 v14, 0x7c00, v14, s0
	v_cmp_eq_u32_e64 s0, 0x40f, v13
	s_waitcnt lgkmcnt(0)
	v_lshrrev_b32_e32 v20, 16, v11
	v_bfe_u32 v22, v8, 20, 11
	s_mul_i32 s1, s9, 0x348
	s_mul_hi_u32 s2, s8, 0x348
	v_cndmask_b32_e64 v13, v14, v15, s0
	v_lshrrev_b32_e32 v15, v17, v19
	v_cmp_ne_u32_e64 s0, 0, v7
	v_mul_f16_sdwa v14, v67, v20 dst_sel:DWORD dst_unused:UNUSED_PAD src0_sel:WORD_1 src1_sel:DWORD
	s_add_i32 s7, s2, s1
	v_and_or_b32 v16, 0x8000, v16, v13
	v_lshlrev_b32_e32 v17, v17, v15
	v_cndmask_b32_e64 v7, 0, 1, s0
	v_fmac_f16_e32 v14, v67, v11
	v_mul_f16_sdwa v11, v67, v11 dst_sel:DWORD dst_unused:UNUSED_PAD src0_sel:WORD_1 src1_sel:DWORD
	v_lshl_or_b32 v1, v16, 16, v1
	v_cmp_ne_u32_e64 s0, v17, v19
	v_and_or_b32 v7, 0xffe, v21, v7
	v_sub_nc_u32_e32 v21, 0x3f1, v22
	v_cvt_f32_f16_e32 v14, v14
	v_fma_f16 v11, v67, v20, -v11
	v_cndmask_b32_e64 v17, 0, 1, s0
	v_or_b32_e32 v19, 0x1000, v7
	v_med3_i32 v21, v21, 0, 13
	v_cvt_f64_f32_e32 v[13:14], v14
	v_cmp_gt_i32_e64 s0, 1, v18
	v_or_b32_e32 v15, v15, v17
	v_lshl_or_b32 v17, v18, 12, v9
	v_lshrrev_b32_e32 v23, v21, v19
	v_cvt_f32_f16_e32 v11, v11
	v_lshrrev_b32_e32 v10, 16, v10
	v_lshrrev_b32_e32 v8, 16, v8
	v_cndmask_b32_e64 v15, v17, v15, s0
	v_lshlrev_b32_e32 v17, v21, v23
	s_lshl_b64 s[6:7], s[6:7], 2
	v_and_b32_e32 v21, 7, v15
	v_cmp_ne_u32_e64 s0, v17, v19
	v_add_nc_u32_e32 v19, 0xfffffc10, v22
	v_lshrrev_b32_e32 v15, 2, v15
	v_cmp_eq_u32_e64 s1, 3, v21
	v_cndmask_b32_e64 v17, 0, 1, s0
	v_cmp_lt_i32_e64 s0, 5, v21
	v_cmp_gt_i32_e64 s2, 1, v19
	v_mul_f64 v[13:14], v[13:14], s[4:5]
	v_or_b32_e32 v16, v23, v17
	v_lshl_or_b32 v17, v19, 12, v7
	s_or_b32 s0, s1, s0
	v_add_co_ci_u32_e64 v20, s0, 0, v15, s0
	v_cndmask_b32_e64 v17, v17, v16, s2
	v_cvt_f64_f32_e32 v[15:16], v11
	v_cmp_ne_u32_e64 s0, 0, v9
	v_cmp_eq_u32_e64 s2, 0x40f, v18
	v_and_b32_e32 v11, 7, v17
	v_cndmask_b32_e64 v9, 0, 1, s0
	v_cmp_gt_i32_e64 s0, 31, v18
	v_cmp_eq_u32_e64 s1, 3, v11
	v_lshl_or_b32 v9, v9, 9, 0x7c00
	v_cndmask_b32_e64 v20, 0x7c00, v20, s0
	v_cmp_lt_i32_e64 s0, 5, v11
	v_lshrrev_b32_e32 v11, 2, v17
	v_and_or_b32 v13, 0x1ff, v14, v13
	ds_read2_b32 v[17:18], v4 offset0:96 offset1:208
	v_cndmask_b32_e64 v9, v20, v9, s2
	s_or_b32 s0, s1, s0
	v_lshrrev_b32_e32 v20, 8, v14
	v_add_co_ci_u32_e64 v11, s0, 0, v11, s0
	v_cmp_ne_u32_e64 s0, 0, v7
	v_mul_f64 v[15:16], v[15:16], s[4:5]
	v_bfe_u32 v21, v14, 20, 11
	v_and_or_b32 v9, 0x8000, v10, v9
	s_mul_i32 s1, s9, 0xfffffd28
	v_cndmask_b32_e64 v7, 0, 1, s0
	v_cmp_ne_u32_e64 s0, 0, v13
	v_lshrrev_b32_e32 v14, 16, v14
	v_and_b32_e32 v9, 0xffff, v9
	v_lshl_or_b32 v7, v7, 9, 0x7c00
	v_cndmask_b32_e64 v13, 0, 1, s0
	v_cmp_gt_i32_e64 s0, 31, v19
	s_waitcnt lgkmcnt(0)
	v_lshrrev_b32_e32 v10, 16, v17
	v_and_or_b32 v13, 0xffe, v20, v13
	v_cndmask_b32_e64 v4, 0x7c00, v11, s0
	v_sub_nc_u32_e32 v11, 0x3f1, v21
	v_cmp_eq_u32_e64 s0, 0x40f, v19
	v_or_b32_e32 v19, 0x1000, v13
	v_med3_i32 v11, v11, 0, 13
	v_cndmask_b32_e64 v7, v4, v7, s0
	v_add_co_u32 v4, s0, v5, s6
	v_add_co_ci_u32_e64 v5, s0, s7, v6, s0
	v_and_or_b32 v8, 0x8000, v8, v7
	v_lshrrev_b32_e32 v6, v11, v19
	v_and_or_b32 v7, 0x1ff, v16, v15
	s_mul_hi_u32 s0, s8, 0xfffffd28
	v_mul_f16_sdwa v15, v66, v10 dst_sel:DWORD dst_unused:UNUSED_PAD src0_sel:WORD_1 src1_sel:DWORD
	s_sub_i32 s2, s0, s8
	v_lshlrev_b32_e32 v11, v11, v6
	v_cmp_ne_u32_e64 s0, 0, v7
	v_lshrrev_b32_e32 v20, 8, v16
	v_bfe_u32 v22, v16, 20, 11
	v_fmac_f16_e32 v15, v66, v17
	v_mul_f16_sdwa v17, v66, v17 dst_sel:DWORD dst_unused:UNUSED_PAD src0_sel:WORD_1 src1_sel:DWORD
	v_cndmask_b32_e64 v7, 0, 1, s0
	v_cmp_ne_u32_e64 s0, v11, v19
	v_add_nc_u32_e32 v19, 0xfffffc10, v21
	v_cvt_f32_f16_e32 v15, v15
	v_fma_f16 v10, v66, v10, -v17
	v_and_or_b32 v20, 0xffe, v20, v7
	v_cndmask_b32_e64 v11, 0, 1, s0
	v_sub_nc_u32_e32 v7, 0x3f1, v22
	v_lshl_or_b32 v21, v19, 12, v13
	v_cmp_gt_i32_e64 s0, 1, v19
	v_or_b32_e32 v23, 0x1000, v20
	v_or_b32_e32 v11, v6, v11
	v_med3_i32 v26, v7, 0, 13
	v_cvt_f64_f32_e32 v[6:7], v15
	s_add_i32 s1, s2, s1
	v_cvt_f32_f16_e32 v10, v10
	v_cndmask_b32_e64 v11, v21, v11, s0
	v_lshrrev_b32_e32 v15, v26, v23
	s_mul_i32 s0, s8, 0xfffffd28
	v_lshl_or_b32 v21, v8, 16, v9
	s_lshl_b64 s[8:9], s[0:1], 2
	v_and_b32_e32 v29, 7, v11
	v_lshlrev_b32_e32 v26, v26, v15
	v_add_co_u32 v8, s0, v4, s8
	v_add_co_ci_u32_e64 v9, s0, s9, v5, s0
	v_cmp_ne_u32_e64 s1, v26, v23
	v_cmp_lt_i32_e64 s0, 5, v29
	v_lshrrev_b32_e32 v23, 2, v11
	v_cvt_f64_f32_e32 v[10:11], v10
	v_add_nc_u32_e32 v22, 0xfffffc10, v22
	v_cndmask_b32_e64 v17, 0, 1, s1
	v_cmp_eq_u32_e64 s1, 3, v29
	global_store_dword v[4:5], v1, off
	global_store_dword v[8:9], v21, off
	v_mul_f64 v[6:7], v[6:7], s[4:5]
	v_lshrrev_b32_e32 v16, 16, v16
	v_or_b32_e32 v15, v15, v17
	s_or_b32 s0, s1, s0
	v_lshl_or_b32 v17, v22, 12, v20
	v_add_co_ci_u32_e64 v23, s0, 0, v23, s0
	v_cmp_ne_u32_e64 s0, 0, v13
	v_cndmask_b32_e64 v13, 0, 1, s0
	v_cmp_gt_i32_e64 s0, 1, v22
	v_lshl_or_b32 v13, v13, 9, 0x7c00
	v_cndmask_b32_e64 v15, v17, v15, s0
	v_cmp_gt_i32_e64 s0, 31, v19
	v_mul_f64 v[4:5], v[10:11], s[4:5]
	v_and_or_b32 v6, 0x1ff, v7, v6
	v_and_b32_e32 v1, 7, v15
	v_cndmask_b32_e64 v17, 0x7c00, v23, s0
	v_cmp_eq_u32_e64 s0, 0x40f, v19
	v_lshrrev_b32_e32 v10, 8, v7
	v_cmp_ne_u32_e64 s2, 0, v6
	v_cmp_eq_u32_e64 s1, 3, v1
	v_cndmask_b32_e64 v13, v17, v13, s0
	v_cmp_lt_i32_e64 s0, 5, v1
	v_lshrrev_b32_e32 v1, 2, v15
	v_cndmask_b32_e64 v6, 0, 1, s2
	v_bfe_u32 v15, v7, 20, 11
	v_lshrrev_b32_e32 v17, 16, v12
	s_or_b32 s0, s1, s0
	v_and_or_b32 v13, 0x8000, v14, v13
	v_add_co_ci_u32_e64 v1, s0, 0, v1, s0
	v_and_or_b32 v6, 0xffe, v10, v6
	v_sub_nc_u32_e32 v10, 0x3f1, v15
	v_cmp_ne_u32_e64 s0, 0, v20
	v_and_or_b32 v4, 0x1ff, v5, v4
	v_mul_f16_sdwa v11, v65, v17 dst_sel:DWORD dst_unused:UNUSED_PAD src0_sel:WORD_1 src1_sel:DWORD
	v_or_b32_e32 v20, 0x1000, v6
	v_med3_i32 v10, v10, 0, 13
	v_cndmask_b32_e64 v19, 0, 1, s0
	v_cmp_gt_i32_e64 s0, 31, v22
	v_fmac_f16_e32 v11, v65, v12
	v_add_nc_u32_e32 v15, 0xfffffc10, v15
	v_lshrrev_b32_e32 v21, v10, v20
	v_lshl_or_b32 v19, v19, 9, 0x7c00
	v_cndmask_b32_e64 v1, 0x7c00, v1, s0
	v_cmp_eq_u32_e64 s0, 0x40f, v22
	v_cvt_f32_f16_e32 v11, v11
	v_lshrrev_b32_e32 v22, 8, v5
	v_bfe_u32 v23, v5, 20, 11
	v_mul_f16_sdwa v12, v65, v12 dst_sel:DWORD dst_unused:UNUSED_PAD src0_sel:WORD_1 src1_sel:DWORD
	v_cndmask_b32_e64 v1, v1, v19, s0
	v_lshlrev_b32_e32 v19, v10, v21
	v_cmp_ne_u32_e64 s0, 0, v4
	v_cvt_f64_f32_e32 v[10:11], v11
	v_fma_f16 v12, v65, v17, -v12
	v_and_or_b32 v1, 0x8000, v16, v1
	v_and_b32_e32 v17, 0xffff, v13
	v_cndmask_b32_e64 v4, 0, 1, s0
	v_cmp_ne_u32_e64 s0, v19, v20
	v_sub_nc_u32_e32 v20, 0x3f1, v23
	v_cvt_f32_f16_e32 v12, v12
	v_lshrrev_b32_e32 v5, 16, v5
	v_and_or_b32 v4, 0xffe, v22, v4
	v_cndmask_b32_e64 v19, 0, 1, s0
	v_cmp_gt_i32_e64 s0, 1, v15
	v_med3_i32 v20, v20, 0, 13
	v_cvt_f64_f32_e32 v[12:13], v12
	v_or_b32_e32 v22, 0x1000, v4
	v_or_b32_e32 v19, v21, v19
	v_lshl_or_b32 v21, v15, 12, v6
	v_lshl_or_b32 v1, v1, 16, v17
	v_lshrrev_b32_e32 v14, v20, v22
	v_cndmask_b32_e64 v19, v21, v19, s0
	v_mul_f64 v[10:11], v[10:11], s[4:5]
	v_lshlrev_b32_e32 v20, v20, v14
	v_and_b32_e32 v16, 7, v19
	v_cmp_ne_u32_e64 s2, v20, v22
	v_add_nc_u32_e32 v20, 0xfffffc10, v23
	v_cmp_lt_i32_e64 s0, 5, v16
	v_cmp_eq_u32_e64 s1, 3, v16
	v_lshrrev_b32_e32 v16, 2, v19
	v_cndmask_b32_e64 v19, 0, 1, s2
	s_or_b32 s0, s1, s0
	v_add_co_ci_u32_e64 v16, s0, 0, v16, s0
	v_cmp_ne_u32_e64 s0, 0, v6
	v_or_b32_e32 v14, v14, v19
	v_lshl_or_b32 v19, v20, 12, v4
	v_and_or_b32 v10, 0x1ff, v11, v10
	v_bfe_u32 v21, v11, 20, 11
	v_cndmask_b32_e64 v6, 0, 1, s0
	v_cmp_gt_i32_e64 s0, 31, v15
	v_lshl_or_b32 v6, v6, 9, 0x7c00
	v_cndmask_b32_e64 v16, 0x7c00, v16, s0
	v_cmp_gt_i32_e64 s0, 1, v20
	v_cndmask_b32_e64 v14, v19, v14, s0
	v_cmp_eq_u32_e64 s0, 0x40f, v15
	v_and_b32_e32 v19, 7, v14
	v_cndmask_b32_e64 v15, v16, v6, s0
	v_lshrrev_b32_e32 v16, 16, v7
	v_mul_f64 v[6:7], v[12:13], s[4:5]
	v_cmp_ne_u32_e64 s0, 0, v10
	v_lshrrev_b32_e32 v12, 8, v11
	v_cmp_eq_u32_e64 s1, 3, v19
	v_lshrrev_b32_e32 v13, 2, v14
	v_lshrrev_b32_e32 v14, 16, v18
	v_cndmask_b32_e64 v10, 0, 1, s0
	v_cmp_lt_i32_e64 s0, 5, v19
	v_and_or_b32 v15, 0x8000, v16, v15
	v_mul_f16_sdwa v22, v64, v14 dst_sel:DWORD dst_unused:UNUSED_PAD src0_sel:WORD_1 src1_sel:DWORD
	v_and_or_b32 v10, 0xffe, v12, v10
	v_sub_nc_u32_e32 v12, 0x3f1, v21
	s_or_b32 s0, s1, s0
	v_add_nc_u32_e32 v21, 0xfffffc10, v21
	v_add_co_ci_u32_e64 v13, s0, 0, v13, s0
	v_or_b32_e32 v19, 0x1000, v10
	v_med3_i32 v12, v12, 0, 13
	v_cmp_gt_i32_e64 s0, 31, v20
	v_fmac_f16_e32 v22, v64, v18
	v_and_b32_e32 v15, 0xffff, v15
	v_and_or_b32 v6, 0x1ff, v7, v6
	v_lshrrev_b32_e32 v23, v12, v19
	v_cndmask_b32_e64 v16, 0x7c00, v13, s0
	v_cmp_ne_u32_e64 s0, 0, v4
	v_bfe_u32 v29, v7, 20, 11
	v_lshlrev_b32_e32 v26, v12, v23
	v_cvt_f32_f16_e32 v12, v22
	v_cndmask_b32_e64 v4, 0, 1, s0
	v_cmp_ne_u32_e64 s0, 0, v6
	v_lshrrev_b32_e32 v22, 8, v7
	v_lshrrev_b32_e32 v7, 16, v7
	v_cvt_f64_f32_e32 v[12:13], v12
	v_lshl_or_b32 v4, v4, 9, 0x7c00
	v_cndmask_b32_e64 v6, 0, 1, s0
	v_cmp_ne_u32_e64 s0, v26, v19
	v_and_or_b32 v6, 0xffe, v22, v6
	v_cndmask_b32_e64 v19, 0, 1, s0
	v_sub_nc_u32_e32 v22, 0x3f1, v29
	v_cmp_eq_u32_e64 s0, 0x40f, v20
	v_or_b32_e32 v26, 0x1000, v6
	v_or_b32_e32 v19, v23, v19
	v_lshl_or_b32 v23, v21, 12, v10
	v_med3_i32 v22, v22, 0, 13
	v_cndmask_b32_e64 v4, v16, v4, s0
	v_cmp_gt_i32_e64 s0, 1, v21
	v_and_or_b32 v17, 0x8000, v5, v4
	v_cndmask_b32_e64 v16, v23, v19, s0
	v_lshrrev_b32_e32 v19, v22, v26
	v_mul_f64 v[4:5], v[12:13], s[4:5]
	v_mul_f16_sdwa v12, v64, v18 dst_sel:DWORD dst_unused:UNUSED_PAD src0_sel:WORD_1 src1_sel:DWORD
	v_add_co_u32 v8, s0, v8, s6
	v_lshlrev_b32_e32 v22, v22, v19
	v_and_b32_e32 v20, 7, v16
	v_add_co_ci_u32_e64 v9, s0, s7, v9, s0
	v_fma_f16 v12, v64, v14, -v12
	v_cmp_ne_u32_e64 s1, v22, v26
	v_cmp_lt_i32_e64 s0, 5, v20
	v_lshrrev_b32_e32 v14, 2, v16
	v_add_nc_u32_e32 v22, 0xfffffc10, v29
	v_cvt_f32_f16_e32 v12, v12
	v_cndmask_b32_e64 v13, 0, 1, s1
	v_cmp_eq_u32_e64 s1, 3, v20
	v_lshl_or_b32 v18, v17, 16, v15
	v_lshl_or_b32 v16, v22, 12, v6
	v_add_nc_u32_e32 v20, 0x1200, v56
	v_or_b32_e32 v15, v19, v13
	s_or_b32 s0, s1, s0
	v_cvt_f64_f32_e32 v[12:13], v12
	v_add_co_ci_u32_e64 v14, s0, 0, v14, s0
	v_cmp_ne_u32_e64 s0, 0, v10
	v_and_or_b32 v4, 0x1ff, v5, v4
	v_bfe_u32 v19, v5, 20, 11
	v_lshrrev_b32_e32 v23, 16, v11
	global_store_dword v[8:9], v1, off
	v_cndmask_b32_e64 v10, 0, 1, s0
	v_cmp_gt_i32_e64 s0, 1, v22
	v_lshl_or_b32 v10, v10, 9, 0x7c00
	v_cndmask_b32_e64 v16, v16, v15, s0
	v_cmp_gt_i32_e64 s0, 31, v21
	v_lshrrev_b32_e32 v15, 8, v5
	v_lshrrev_b32_e32 v5, 16, v5
	v_and_b32_e32 v17, 7, v16
	v_cndmask_b32_e64 v14, 0x7c00, v14, s0
	v_cmp_ne_u32_e64 s0, 0, v4
	v_mul_f64 v[12:13], v[12:13], s[4:5]
	v_lshrrev_b32_e32 v16, 2, v16
	v_cmp_eq_u32_e64 s1, 3, v17
	v_cndmask_b32_e64 v4, 0, 1, s0
	v_cmp_eq_u32_e64 s0, 0x40f, v21
	v_and_or_b32 v4, 0xffe, v15, v4
	v_cndmask_b32_e64 v21, v14, v10, s0
	v_sub_nc_u32_e32 v10, 0x3f1, v19
	ds_read2_b32 v[14:15], v20 offset0:24 offset1:136
	v_cmp_lt_i32_e64 s0, 5, v17
	v_or_b32_e32 v17, 0x1000, v4
	v_and_or_b32 v21, 0x8000, v23, v21
	v_med3_i32 v20, v10, 0, 13
	v_add_nc_u32_e32 v19, 0xfffffc10, v19
	s_or_b32 s0, s1, s0
	v_add_co_ci_u32_e64 v16, s0, 0, v16, s0
	v_lshrrev_b32_e32 v26, v20, v17
	v_add_co_u32 v10, s0, v8, s8
	v_add_co_ci_u32_e64 v11, s0, s9, v9, s0
	v_lshlrev_b32_e32 v20, v20, v26
	v_cmp_gt_i32_e64 s0, 31, v22
	v_and_or_b32 v12, 0x1ff, v13, v12
	v_bfe_u32 v30, v13, 20, 11
	v_and_b32_e32 v21, 0xffff, v21
	s_waitcnt lgkmcnt(0)
	v_lshrrev_b32_e32 v29, 16, v14
	v_cndmask_b32_e64 v23, 0x7c00, v16, s0
	v_cmp_ne_u32_e64 s0, v20, v17
	v_lshl_or_b32 v20, v19, 12, v4
	global_store_dword v[10:11], v18, off
	v_mul_f16_sdwa v17, v63, v29 dst_sel:DWORD dst_unused:UNUSED_PAD src0_sel:WORD_1 src1_sel:DWORD
	v_cndmask_b32_e64 v16, 0, 1, s0
	v_cmp_ne_u32_e64 s0, 0, v6
	v_fmac_f16_e32 v17, v63, v14
	v_mul_f16_sdwa v14, v63, v14 dst_sel:DWORD dst_unused:UNUSED_PAD src0_sel:WORD_1 src1_sel:DWORD
	v_or_b32_e32 v16, v26, v16
	v_cndmask_b32_e64 v6, 0, 1, s0
	v_cmp_ne_u32_e64 s0, 0, v12
	v_lshrrev_b32_e32 v26, 8, v13
	v_cvt_f32_f16_e32 v17, v17
	v_lshrrev_b32_e32 v13, 16, v13
	v_lshl_or_b32 v6, v6, 9, 0x7c00
	v_cndmask_b32_e64 v12, 0, 1, s0
	v_cmp_gt_i32_e64 s0, 1, v19
	v_and_or_b32 v12, 0xffe, v26, v12
	v_sub_nc_u32_e32 v26, 0x3f1, v30
	v_cndmask_b32_e64 v20, v20, v16, s0
	v_cvt_f64_f32_e32 v[16:17], v17
	v_cmp_eq_u32_e64 s0, 0x40f, v22
	v_or_b32_e32 v32, 0x1000, v12
	v_med3_i32 v26, v26, 0, 13
	v_and_b32_e32 v31, 7, v20
	v_cndmask_b32_e64 v6, v23, v6, s0
	v_lshrrev_b32_e32 v22, v26, v32
	v_cmp_lt_i32_e64 s0, 5, v31
	v_cmp_eq_u32_e64 s1, 3, v31
	v_and_or_b32 v23, 0x8000, v7, v6
	v_lshrrev_b32_e32 v6, 2, v20
	v_fma_f16 v7, v63, v29, -v14
	v_lshlrev_b32_e32 v14, v26, v22
	s_or_b32 s0, s1, s0
	v_add_nc_u32_e32 v29, 0xfffffc10, v30
	v_add_co_ci_u32_e64 v20, s0, 0, v6, s0
	v_cmp_ne_u32_e64 s0, v14, v32
	v_cvt_f32_f16_e32 v26, v7
	v_lshl_or_b32 v18, v23, 16, v21
	v_mul_f64 v[6:7], v[16:17], s[4:5]
	v_cndmask_b32_e64 v14, 0, 1, s0
	v_cmp_ne_u32_e64 s0, 0, v4
	v_cvt_f64_f32_e32 v[16:17], v26
	v_or_b32_e32 v14, v22, v14
	v_cndmask_b32_e64 v4, 0, 1, s0
	v_cmp_gt_i32_e64 s0, 31, v19
	v_lshl_or_b32 v22, v29, 12, v12
	v_lshl_or_b32 v4, v4, 9, 0x7c00
	v_cndmask_b32_e64 v20, 0x7c00, v20, s0
	v_cmp_gt_i32_e64 s0, 1, v29
	v_cndmask_b32_e64 v14, v22, v14, s0
	v_cmp_eq_u32_e64 s0, 0x40f, v19
	v_and_or_b32 v8, 0x1ff, v7, v6
	v_lshrrev_b32_e32 v9, 8, v7
	v_and_b32_e32 v1, 7, v14
	v_cndmask_b32_e64 v19, v20, v4, s0
	ds_read2_b32 v[3:4], v3 offset0:64 offset1:176
	v_cmp_ne_u32_e64 s2, 0, v8
	v_cmp_lt_i32_e64 s0, 5, v1
	v_and_or_b32 v19, 0x8000, v5, v19
	v_mul_f64 v[5:6], v[16:17], s[4:5]
	v_cmp_eq_u32_e64 s1, 3, v1
	v_lshrrev_b32_e32 v1, 2, v14
	v_cndmask_b32_e64 v8, 0, 1, s2
	v_bfe_u32 v14, v7, 20, 11
	s_or_b32 s0, s1, s0
	v_add_co_ci_u32_e64 v1, s0, 0, v1, s0
	v_and_or_b32 v20, 0xffe, v9, v8
	v_sub_nc_u32_e32 v8, 0x3f1, v14
	v_cmp_ne_u32_e64 s0, 0, v12
	v_add_nc_u32_e32 v14, 0xfffffc10, v14
	s_waitcnt lgkmcnt(0)
	v_lshrrev_b32_e32 v16, 16, v3
	v_or_b32_e32 v12, 0x1000, v20
	v_cndmask_b32_e64 v9, 0, 1, s0
	v_med3_i32 v8, v8, 0, 13
	v_cmp_gt_i32_e64 s0, 31, v29
	v_mul_f16_sdwa v17, v62, v16 dst_sel:DWORD dst_unused:UNUSED_PAD src0_sel:WORD_1 src1_sel:DWORD
	v_lshl_or_b32 v9, v9, 9, 0x7c00
	v_lshrrev_b32_e32 v21, v8, v12
	v_cndmask_b32_e64 v1, 0x7c00, v1, s0
	v_and_or_b32 v5, 0x1ff, v6, v5
	v_cmp_eq_u32_e64 s0, 0x40f, v29
	v_fmac_f16_e32 v17, v62, v3
	v_lshlrev_b32_e32 v22, v8, v21
	v_bfe_u32 v23, v6, 20, 11
	v_mul_f16_sdwa v3, v62, v3 dst_sel:DWORD dst_unused:UNUSED_PAD src0_sel:WORD_1 src1_sel:DWORD
	v_cndmask_b32_e64 v1, v1, v9, s0
	v_cmp_ne_u32_e64 s0, 0, v5
	v_cvt_f32_f16_e32 v8, v17
	v_lshrrev_b32_e32 v17, 8, v6
	v_fma_f16 v3, v62, v16, -v3
	v_and_or_b32 v1, 0x8000, v13, v1
	v_cndmask_b32_e64 v5, 0, 1, s0
	v_cmp_ne_u32_e64 s0, v22, v12
	v_cvt_f64_f32_e32 v[8:9], v8
	v_and_b32_e32 v13, 0xffff, v19
	v_cvt_f32_f16_e32 v3, v3
	v_and_or_b32 v5, 0xffe, v17, v5
	v_cndmask_b32_e64 v12, 0, 1, s0
	v_sub_nc_u32_e32 v17, 0x3f1, v23
	v_cmp_gt_i32_e64 s0, 1, v14
	v_lshl_or_b32 v1, v1, 16, v13
	v_or_b32_e32 v22, 0x1000, v5
	v_or_b32_e32 v12, v21, v12
	v_lshl_or_b32 v21, v14, 12, v20
	v_med3_i32 v17, v17, 0, 13
	v_cndmask_b32_e64 v19, v21, v12, s0
	v_lshrrev_b32_e32 v21, v17, v22
	v_add_co_u32 v10, s0, v10, s6
	v_add_co_ci_u32_e64 v11, s0, s7, v11, s0
	v_lshlrev_b32_e32 v17, v17, v21
	v_and_b32_e32 v26, 7, v19
	v_mul_f64 v[8:9], v[8:9], s[4:5]
	v_add_co_u32 v12, s0, v10, s8
	v_cmp_ne_u32_e64 s1, v17, v22
	v_add_co_ci_u32_e64 v13, s0, s9, v11, s0
	v_cmp_lt_i32_e64 s0, 5, v26
	v_lshrrev_b32_e32 v19, 2, v19
	v_cndmask_b32_e64 v16, 0, 1, s1
	v_cmp_eq_u32_e64 s1, 3, v26
	v_add_nc_u32_e32 v22, 0xfffffc10, v23
	global_store_dword v[10:11], v18, off
	global_store_dword v[12:13], v1, off
	v_or_b32_e32 v21, v21, v16
	s_or_b32 s0, s1, s0
	v_cvt_f64_f32_e32 v[16:17], v3
	v_add_co_ci_u32_e64 v3, s0, 0, v19, s0
	v_cmp_ne_u32_e64 s0, 0, v20
	v_lshl_or_b32 v23, v22, 12, v5
	v_and_or_b32 v8, 0x1ff, v9, v8
	v_cndmask_b32_e64 v19, 0, 1, s0
	v_cmp_gt_i32_e64 s0, 1, v22
	v_bfe_u32 v26, v9, 20, 11
	v_lshl_or_b32 v19, v19, 9, 0x7c00
	v_cndmask_b32_e64 v20, v23, v21, s0
	v_cmp_gt_i32_e64 s0, 31, v14
	v_lshrrev_b32_e32 v23, 8, v9
	v_lshrrev_b32_e32 v9, 16, v9
	v_and_b32_e32 v21, 7, v20
	v_cndmask_b32_e64 v3, 0x7c00, v3, s0
	v_cmp_ne_u32_e64 s0, 0, v8
	v_cmp_eq_u32_e64 s1, 3, v21
	v_cndmask_b32_e64 v8, 0, 1, s0
	v_cmp_eq_u32_e64 s0, 0x40f, v14
	v_lshrrev_b32_e32 v14, 16, v7
	v_cndmask_b32_e64 v3, v3, v19, s0
	v_cmp_lt_i32_e64 s0, 5, v21
	v_and_or_b32 v19, 0xffe, v23, v8
	v_mul_f64 v[7:8], v[16:17], s[4:5]
	v_lshrrev_b32_e32 v17, 2, v20
	v_sub_nc_u32_e32 v23, 0x3f1, v26
	s_or_b32 s0, s1, s0
	v_or_b32_e32 v20, 0x1000, v19
	v_lshrrev_b32_e32 v16, 16, v15
	v_add_co_ci_u32_e64 v17, s0, 0, v17, s0
	v_med3_i32 v21, v23, 0, 13
	v_cmp_ne_u32_e64 s0, 0, v5
	v_mul_f16_sdwa v23, v61, v16 dst_sel:DWORD dst_unused:UNUSED_PAD src0_sel:WORD_1 src1_sel:DWORD
	v_and_or_b32 v3, 0x8000, v14, v3
	v_lshrrev_b32_e32 v29, v21, v20
	v_cndmask_b32_e64 v5, 0, 1, s0
	v_cmp_gt_i32_e64 s0, 31, v22
	v_fmac_f16_e32 v23, v61, v15
	v_and_b32_e32 v3, 0xffff, v3
	v_lshlrev_b32_e32 v14, v21, v29
	v_lshl_or_b32 v5, v5, 9, 0x7c00
	v_cndmask_b32_e64 v17, 0x7c00, v17, s0
	v_cmp_eq_u32_e64 s0, 0x40f, v22
	v_and_or_b32 v7, 0x1ff, v8, v7
	v_cvt_f32_f16_e32 v21, v23
	v_lshrrev_b32_e32 v22, 16, v6
	v_bfe_u32 v23, v8, 20, 11
	v_cndmask_b32_e64 v17, v17, v5, s0
	v_cmp_ne_u32_e64 s0, v14, v20
	v_cvt_f64_f32_e32 v[5:6], v21
	v_add_nc_u32_e32 v20, 0xfffffc10, v26
	v_lshrrev_b32_e32 v21, 8, v8
	v_and_or_b32 v17, 0x8000, v22, v17
	v_cndmask_b32_e64 v14, 0, 1, s0
	v_cmp_ne_u32_e64 s0, 0, v7
	v_lshl_or_b32 v22, v20, 12, v19
	v_lshl_or_b32 v1, v17, 16, v3
	v_or_b32_e32 v14, v29, v14
	v_cndmask_b32_e64 v7, 0, 1, s0
	v_cmp_gt_i32_e64 s0, 1, v20
	v_and_or_b32 v7, 0xffe, v21, v7
	v_sub_nc_u32_e32 v21, 0x3f1, v23
	v_cndmask_b32_e64 v14, v22, v14, s0
	v_add_co_u32 v10, s0, v12, s6
	v_or_b32_e32 v22, 0x1000, v7
	v_med3_i32 v21, v21, 0, 13
	v_and_b32_e32 v3, 7, v14
	v_mul_f64 v[5:6], v[5:6], s[4:5]
	v_add_co_ci_u32_e64 v11, s0, s7, v13, s0
	v_lshrrev_b32_e32 v17, v21, v22
	v_mul_f16_sdwa v13, v61, v15 dst_sel:DWORD dst_unused:UNUSED_PAD src0_sel:WORD_1 src1_sel:DWORD
	v_cmp_lt_i32_e64 s0, 5, v3
	v_cmp_eq_u32_e64 s1, 3, v3
	v_lshrrev_b32_e32 v3, 2, v14
	v_lshlrev_b32_e32 v12, v21, v17
	v_fma_f16 v13, v61, v16, -v13
	v_add_nc_u32_e32 v14, 0xfffffc10, v23
	s_or_b32 s0, s1, s0
	global_store_dword v[10:11], v1, off
	v_cmp_ne_u32_e64 s2, v12, v22
	v_add_co_ci_u32_e64 v3, s0, 0, v3, s0
	v_cvt_f32_f16_e32 v13, v13
	v_cmp_ne_u32_e64 s0, 0, v19
	v_cndmask_b32_e64 v12, 0, 1, s2
	v_lshl_or_b32 v16, v14, 12, v7
	v_and_or_b32 v5, 0x1ff, v6, v5
	v_or_b32_e32 v15, v17, v12
	v_cvt_f64_f32_e32 v[12:13], v13
	v_cndmask_b32_e64 v17, 0, 1, s0
	v_cmp_gt_i32_e64 s0, 1, v14
	v_lshrrev_b32_e32 v18, 8, v6
	v_bfe_u32 v19, v6, 20, 11
	v_lshrrev_b32_e32 v6, 16, v6
	v_cndmask_b32_e64 v15, v16, v15, s0
	v_cmp_gt_i32_e64 s0, 31, v20
	v_lshl_or_b32 v16, v17, 9, 0x7c00
	v_and_b32_e32 v17, 7, v15
	v_cndmask_b32_e64 v3, 0x7c00, v3, s0
	v_cmp_ne_u32_e64 s0, 0, v5
	v_lshrrev_b32_e32 v15, 2, v15
	v_cmp_eq_u32_e64 s1, 3, v17
	v_cndmask_b32_e64 v5, 0, 1, s0
	v_cmp_eq_u32_e64 s0, 0x40f, v20
	v_mul_f64 v[12:13], v[12:13], s[4:5]
	v_and_or_b32 v5, 0xffe, v18, v5
	v_cndmask_b32_e64 v3, v3, v16, s0
	v_cmp_lt_i32_e64 s0, 5, v17
	v_sub_nc_u32_e32 v16, 0x3f1, v19
	v_lshrrev_b32_e32 v18, 16, v4
	v_or_b32_e32 v17, 0x1000, v5
	v_and_or_b32 v3, 0x8000, v9, v3
	s_or_b32 s0, s1, s0
	v_med3_i32 v16, v16, 0, 13
	v_add_co_ci_u32_e64 v15, s0, 0, v15, s0
	v_cmp_ne_u32_e64 s0, 0, v7
	v_mul_f16_sdwa v21, v60, v18 dst_sel:DWORD dst_unused:UNUSED_PAD src0_sel:WORD_1 src1_sel:DWORD
	v_lshrrev_b32_e32 v20, v16, v17
	v_and_b32_e32 v3, 0xffff, v3
	v_cndmask_b32_e64 v7, 0, 1, s0
	v_cmp_gt_i32_e64 s0, 31, v14
	v_lshlrev_b32_e32 v9, v16, v20
	v_fmac_f16_e32 v21, v60, v4
	v_and_or_b32 v12, 0x1ff, v13, v12
	v_lshl_or_b32 v7, v7, 9, 0x7c00
	v_cndmask_b32_e64 v15, 0x7c00, v15, s0
	v_cmp_eq_u32_e64 s0, 0x40f, v14
	v_add_nc_u32_e32 v16, 0xfffffc10, v19
	v_bfe_u32 v19, v13, 20, 11
	v_mul_f16_sdwa v4, v60, v4 dst_sel:DWORD dst_unused:UNUSED_PAD src0_sel:WORD_1 src1_sel:DWORD
	v_cndmask_b32_e64 v14, v15, v7, s0
	v_cmp_ne_u32_e64 s0, v9, v17
	v_cvt_f32_f16_e32 v7, v21
	v_lshrrev_b32_e32 v15, 16, v8
	v_lshrrev_b32_e32 v17, 8, v13
	v_fma_f16 v4, v60, v18, -v4
	v_cndmask_b32_e64 v9, 0, 1, s0
	v_cmp_ne_u32_e64 s0, 0, v12
	v_cvt_f64_f32_e32 v[7:8], v7
	v_and_or_b32 v14, 0x8000, v15, v14
	v_lshl_or_b32 v15, v16, 12, v5
	v_or_b32_e32 v9, v20, v9
	v_cndmask_b32_e64 v12, 0, 1, s0
	v_cmp_gt_i32_e64 s0, 1, v16
	v_lshl_or_b32 v1, v14, 16, v3
	v_lshrrev_b32_e32 v13, 16, v13
	v_and_or_b32 v12, 0xffe, v17, v12
	v_cndmask_b32_e64 v15, v15, v9, s0
	v_sub_nc_u32_e32 v9, 0x3f1, v19
	v_or_b32_e32 v14, 0x1000, v12
	v_and_b32_e32 v3, 7, v15
	v_med3_i32 v17, v9, 0, 13
	v_add_co_u32 v9, s0, v10, s8
	v_add_co_ci_u32_e64 v10, s0, s9, v11, s0
	v_lshrrev_b32_e32 v11, v17, v14
	v_cmp_lt_i32_e64 s0, 5, v3
	v_cmp_eq_u32_e64 s1, 3, v3
	v_mul_f64 v[7:8], v[7:8], s[4:5]
	global_store_dword v[9:10], v1, off
	v_lshrrev_b32_e32 v1, 2, v15
	v_lshlrev_b32_e32 v3, v17, v11
	s_or_b32 s0, s1, s0
	v_add_nc_u32_e32 v17, 0xfffffc10, v19
	v_add_co_u32 v9, s2, v9, s6
	v_add_co_ci_u32_e64 v15, s0, 0, v1, s0
	v_cmp_ne_u32_e64 s0, v3, v14
	v_cvt_f32_f16_e32 v3, v4
	ds_read2_b32 v[1:2], v2 offset0:120 offset1:232
	v_add_co_ci_u32_e64 v10, s2, s7, v10, s2
	v_cndmask_b32_e64 v14, 0, 1, s0
	v_cmp_ne_u32_e64 s0, 0, v5
	v_cvt_f64_f32_e32 v[3:4], v3
	v_or_b32_e32 v11, v11, v14
	v_cndmask_b32_e64 v5, 0, 1, s0
	v_cmp_gt_i32_e64 s0, 31, v16
	v_lshl_or_b32 v14, v17, 12, v12
	v_and_or_b32 v7, 0x1ff, v8, v7
	v_bfe_u32 v18, v8, 20, 11
	v_lshl_or_b32 v5, v5, 9, 0x7c00
	v_cndmask_b32_e64 v15, 0x7c00, v15, s0
	v_cmp_gt_i32_e64 s0, 1, v17
	v_cndmask_b32_e64 v11, v14, v11, s0
	v_cmp_ne_u32_e64 s0, 0, v7
	v_lshrrev_b32_e32 v14, 8, v8
	v_lshrrev_b32_e32 v8, 16, v8
	v_cndmask_b32_e64 v7, 0, 1, s0
	v_cmp_eq_u32_e64 s0, 0x40f, v16
	s_waitcnt lgkmcnt(0)
	v_lshrrev_b32_e32 v16, 16, v1
	v_mul_f64 v[3:4], v[3:4], s[4:5]
	v_and_or_b32 v7, 0xffe, v14, v7
	v_cndmask_b32_e64 v5, v15, v5, s0
	v_and_b32_e32 v15, 7, v11
	v_sub_nc_u32_e32 v14, 0x3f1, v18
	v_mul_f16_sdwa v20, v59, v16 dst_sel:DWORD dst_unused:UNUSED_PAD src0_sel:WORD_1 src1_sel:DWORD
	v_or_b32_e32 v19, 0x1000, v7
	v_cmp_lt_i32_e64 s0, 5, v15
	v_cmp_eq_u32_e64 s1, 3, v15
	v_and_or_b32 v15, 0x8000, v6, v5
	v_lshrrev_b32_e32 v5, 2, v11
	v_med3_i32 v14, v14, 0, 13
	v_fmac_f16_e32 v20, v59, v1
	s_or_b32 s0, s1, s0
	v_and_b32_e32 v15, 0xffff, v15
	v_add_co_ci_u32_e64 v5, s0, 0, v5, s0
	v_lshrrev_b32_e32 v11, v14, v19
	v_cmp_ne_u32_e64 s0, 0, v12
	v_cvt_f32_f16_e32 v12, v20
	v_and_or_b32 v3, 0x1ff, v4, v3
	v_mul_f16_sdwa v1, v59, v1 dst_sel:DWORD dst_unused:UNUSED_PAD src0_sel:WORD_1 src1_sel:DWORD
	v_lshlrev_b32_e32 v14, v14, v11
	v_cndmask_b32_e64 v6, 0, 1, s0
	v_cmp_gt_i32_e64 s0, 31, v17
	v_fma_f16 v1, v59, v16, -v1
	v_lshl_or_b32 v21, v6, 9, 0x7c00
	v_cndmask_b32_e64 v20, 0x7c00, v5, s0
	v_cmp_ne_u32_e64 s0, v14, v19
	v_cvt_f64_f32_e32 v[5:6], v12
	v_add_nc_u32_e32 v14, 0xfffffc10, v18
	v_lshrrev_b32_e32 v18, 8, v4
	v_bfe_u32 v19, v4, 20, 11
	v_cndmask_b32_e64 v12, 0, 1, s0
	v_cmp_eq_u32_e64 s0, 0x40f, v17
	v_cvt_f32_f16_e32 v1, v1
	v_or_b32_e32 v11, v11, v12
	v_cndmask_b32_e64 v17, v20, v21, s0
	v_cmp_ne_u32_e64 s0, 0, v3
	v_lshl_or_b32 v12, v14, 12, v7
	v_cndmask_b32_e64 v3, 0, 1, s0
	v_cmp_gt_i32_e64 s0, 1, v14
	v_and_or_b32 v3, 0xffe, v18, v3
	v_cndmask_b32_e64 v11, v12, v11, s0
	v_and_or_b32 v12, 0x8000, v13, v17
	v_sub_nc_u32_e32 v13, 0x3f1, v19
	v_mul_f64 v[5:6], v[5:6], s[4:5]
	v_or_b32_e32 v18, 0x1000, v3
	v_and_b32_e32 v17, 7, v11
	v_lshrrev_b32_e32 v11, 2, v11
	v_med3_i32 v13, v13, 0, 13
	v_lshl_or_b32 v15, v12, 16, v15
	v_cmp_lt_i32_e64 s0, 5, v17
	v_cmp_eq_u32_e64 s1, 3, v17
	v_lshrrev_b32_e32 v17, v13, v18
	s_or_b32 s0, s1, s0
	v_lshlrev_b32_e32 v12, v13, v17
	v_add_co_ci_u32_e64 v13, s0, 0, v11, s0
	v_cmp_ne_u32_e64 s0, v12, v18
	v_cvt_f64_f32_e32 v[11:12], v1
	v_add_nc_u32_e32 v1, 0xfffffc10, v19
	v_and_or_b32 v5, 0x1ff, v6, v5
	v_lshrrev_b32_e32 v18, 8, v6
	v_cndmask_b32_e64 v16, 0, 1, s0
	v_cmp_gt_i32_e64 s0, 31, v14
	v_bfe_u32 v19, v6, 20, 11
	v_or_b32_e32 v16, v17, v16
	v_cndmask_b32_e64 v13, 0x7c00, v13, s0
	v_cmp_ne_u32_e64 s0, 0, v5
	v_lshl_or_b32 v17, v1, 12, v3
	v_cndmask_b32_e64 v5, 0, 1, s0
	v_cmp_ne_u32_e64 s0, 0, v7
	v_and_or_b32 v5, 0xffe, v18, v5
	v_cndmask_b32_e64 v7, 0, 1, s0
	v_cmp_gt_i32_e64 s0, 1, v1
	v_lshrrev_b32_e32 v18, 16, v0
	v_mul_f64 v[11:12], v[11:12], s[4:5]
	v_or_b32_e32 v21, 0x1000, v5
	v_lshl_or_b32 v7, v7, 9, 0x7c00
	v_cndmask_b32_e64 v16, v17, v16, s0
	v_sub_nc_u32_e32 v17, 0x3f1, v19
	v_cmp_eq_u32_e64 s0, 0x40f, v14
	v_mul_f16_sdwa v22, v58, v18 dst_sel:DWORD dst_unused:UNUSED_PAD src0_sel:WORD_1 src1_sel:DWORD
	v_add_nc_u32_e32 v19, 0xfffffc10, v19
	v_and_b32_e32 v20, 7, v16
	v_med3_i32 v17, v17, 0, 13
	v_cndmask_b32_e64 v7, v13, v7, s0
	v_fmac_f16_e32 v22, v58, v0
	v_mul_f16_sdwa v0, v58, v0 dst_sel:DWORD dst_unused:UNUSED_PAD src0_sel:WORD_1 src1_sel:DWORD
	v_cmp_lt_i32_e64 s0, 5, v20
	v_lshrrev_b32_e32 v13, v17, v21
	v_cmp_eq_u32_e64 s1, 3, v20
	v_and_or_b32 v14, 0x8000, v8, v7
	v_lshrrev_b32_e32 v7, 2, v16
	v_cvt_f32_f16_e32 v16, v22
	v_lshlrev_b32_e32 v8, v17, v13
	s_or_b32 s0, s1, s0
	v_and_b32_e32 v14, 0xffff, v14
	v_add_co_ci_u32_e64 v17, s0, 0, v7, s0
	v_cmp_ne_u32_e64 s0, v8, v21
	v_cvt_f64_f32_e32 v[7:8], v16
	v_lshl_or_b32 v16, v19, 12, v5
	v_and_or_b32 v11, 0x1ff, v12, v11
	v_fma_f16 v0, v58, v18, -v0
	v_cndmask_b32_e64 v20, 0, 1, s0
	v_cmp_ne_u32_e64 s0, 0, v3
	v_lshrrev_b32_e32 v18, 16, v2
	v_cvt_f32_f16_e32 v0, v0
	v_or_b32_e32 v13, v13, v20
	v_cndmask_b32_e64 v3, 0, 1, s0
	v_cmp_gt_i32_e64 s0, 31, v1
	v_bfe_u32 v20, v12, 20, 11
	v_mul_f16_sdwa v22, v57, v18 dst_sel:DWORD dst_unused:UNUSED_PAD src0_sel:WORD_1 src1_sel:DWORD
	v_lshl_or_b32 v3, v3, 9, 0x7c00
	v_cndmask_b32_e64 v17, 0x7c00, v17, s0
	v_cmp_gt_i32_e64 s0, 1, v19
	v_fmac_f16_e32 v22, v57, v2
	v_mul_f16_sdwa v2, v57, v2 dst_sel:DWORD dst_unused:UNUSED_PAD src0_sel:WORD_1 src1_sel:DWORD
	v_cndmask_b32_e64 v13, v16, v13, s0
	v_cmp_ne_u32_e64 s0, 0, v11
	v_lshrrev_b32_e32 v16, 8, v12
	v_fma_f16 v2, v57, v18, -v2
	v_lshrrev_b32_e32 v12, 16, v12
	v_and_b32_e32 v21, 7, v13
	v_cndmask_b32_e64 v11, 0, 1, s0
	v_cmp_eq_u32_e64 s0, 0x40f, v1
	v_lshrrev_b32_e32 v13, 2, v13
	v_cvt_f32_f16_e32 v2, v2
	v_cmp_eq_u32_e64 s1, 3, v21
	v_and_or_b32 v11, 0xffe, v16, v11
	v_sub_nc_u32_e32 v16, 0x3f1, v20
	v_cndmask_b32_e64 v1, v17, v3, s0
	v_cmp_lt_i32_e64 s0, 5, v21
	v_lshrrev_b32_e32 v17, 16, v4
	v_mul_f64 v[3:4], v[7:8], s[4:5]
	v_or_b32_e32 v7, 0x1000, v11
	v_med3_i32 v8, v16, 0, 13
	s_or_b32 s0, s1, s0
	v_and_or_b32 v1, 0x8000, v17, v1
	v_add_co_ci_u32_e64 v13, s0, 0, v13, s0
	v_lshrrev_b32_e32 v16, v8, v7
	v_cmp_ne_u32_e64 s0, 0, v5
	v_lshl_or_b32 v14, v1, 16, v14
	v_lshlrev_b32_e32 v1, v8, v16
	v_cndmask_b32_e64 v5, 0, 1, s0
	v_cmp_gt_i32_e64 s0, 31, v19
	v_lshl_or_b32 v5, v5, 9, 0x7c00
	v_cndmask_b32_e64 v8, 0x7c00, v13, s0
	v_cmp_ne_u32_e64 s0, v1, v7
	v_add_nc_u32_e32 v13, 0xfffffc10, v20
	v_and_or_b32 v3, 0x1ff, v4, v3
	v_bfe_u32 v17, v4, 20, 11
	v_cndmask_b32_e64 v1, 0, 1, s0
	v_cmp_eq_u32_e64 s0, 0x40f, v19
	v_lshrrev_b32_e32 v19, 16, v6
	v_cndmask_b32_e64 v7, v8, v5, s0
	v_cmp_ne_u32_e64 s0, 0, v3
	v_or_b32_e32 v5, v16, v1
	v_lshrrev_b32_e32 v16, 8, v4
	v_lshl_or_b32 v8, v13, 12, v11
	v_cvt_f64_f32_e32 v[0:1], v0
	v_cndmask_b32_e64 v3, 0, 1, s0
	v_cmp_gt_i32_e64 s0, 1, v13
	v_and_or_b32 v19, 0x8000, v19, v7
	v_lshrrev_b32_e32 v4, 16, v4
	v_and_or_b32 v16, 0xffe, v16, v3
	v_sub_nc_u32_e32 v3, 0x3f1, v17
	v_cndmask_b32_e64 v8, v8, v5, s0
	v_add_co_u32 v5, s0, v9, s8
	v_or_b32_e32 v21, 0x1000, v16
	v_med3_i32 v3, v3, 0, 13
	v_and_b32_e32 v20, 7, v8
	v_add_co_ci_u32_e64 v6, s0, s9, v10, s0
	v_lshrrev_b32_e32 v7, 2, v8
	v_lshrrev_b32_e32 v23, v3, v21
	v_cmp_lt_i32_e64 s0, 5, v20
	v_cmp_eq_u32_e64 s1, 3, v20
	v_cvt_f32_f16_e32 v8, v22
	v_add_nc_u32_e32 v17, 0xfffffc10, v17
	v_lshlrev_b32_e32 v3, v3, v23
	v_mul_f64 v[0:1], v[0:1], s[4:5]
	s_or_b32 s0, s1, s0
	v_add_co_ci_u32_e64 v20, s0, 0, v7, s0
	v_cmp_ne_u32_e64 s0, v3, v21
	v_cvt_f64_f32_e32 v[7:8], v8
	v_lshl_or_b32 v21, v17, 12, v16
	v_cndmask_b32_e64 v3, 0, 1, s0
	v_cmp_ne_u32_e64 s0, 0, v11
	v_or_b32_e32 v3, v23, v3
	v_cndmask_b32_e64 v11, 0, 1, s0
	v_cmp_gt_i32_e64 s0, 31, v13
	v_lshl_or_b32 v11, v11, 9, 0x7c00
	v_cndmask_b32_e64 v18, 0x7c00, v20, s0
	v_cmp_gt_i32_e64 s0, 1, v17
	v_and_or_b32 v0, 0x1ff, v1, v0
	v_cndmask_b32_e64 v20, v21, v3, s0
	v_cmp_eq_u32_e64 s0, 0x40f, v13
	v_mul_f64 v[7:8], v[7:8], s[4:5]
	v_cvt_f64_f32_e32 v[2:3], v2
	v_bfe_u32 v21, v1, 20, 11
	v_and_b32_e32 v13, 7, v20
	v_cndmask_b32_e64 v11, v18, v11, s0
	v_cmp_ne_u32_e64 s0, 0, v0
	v_lshrrev_b32_e32 v18, 8, v1
	v_lshrrev_b32_e32 v1, 16, v1
	v_cmp_eq_u32_e64 s1, 3, v13
	v_and_or_b32 v11, 0x8000, v12, v11
	v_and_b32_e32 v12, 0xffff, v19
	v_cndmask_b32_e64 v0, 0, 1, s0
	v_cmp_lt_i32_e64 s0, 5, v13
	v_lshl_or_b32 v11, v11, 16, v12
	v_lshrrev_b32_e32 v12, 2, v20
	v_and_or_b32 v0, 0xffe, v18, v0
	v_sub_nc_u32_e32 v18, 0x3f1, v21
	s_or_b32 s0, s1, s0
	v_add_co_ci_u32_e64 v12, s0, 0, v12, s0
	v_or_b32_e32 v13, 0x1000, v0
	v_med3_i32 v18, v18, 0, 13
	v_cmp_ne_u32_e64 s0, 0, v16
	v_and_or_b32 v7, 0x1ff, v8, v7
	v_mul_f64 v[2:3], v[2:3], s[4:5]
	v_lshrrev_b32_e32 v20, 8, v8
	v_lshrrev_b32_e32 v19, v18, v13
	v_cndmask_b32_e64 v16, 0, 1, s0
	v_cmp_gt_i32_e64 s0, 31, v17
	v_bfe_u32 v22, v8, 20, 11
	v_lshrrev_b32_e32 v8, 16, v8
	v_lshlrev_b32_e32 v18, v18, v19
	v_lshl_or_b32 v16, v16, 9, 0x7c00
	v_cndmask_b32_e64 v12, 0x7c00, v12, s0
	v_cmp_ne_u32_e64 s0, 0, v7
	v_cndmask_b32_e64 v7, 0, 1, s0
	v_cmp_ne_u32_e64 s0, v18, v13
	v_add_nc_u32_e32 v18, 0xfffffc10, v21
	v_and_or_b32 v7, 0xffe, v20, v7
	v_cndmask_b32_e64 v13, 0, 1, s0
	v_sub_nc_u32_e32 v20, 0x3f1, v22
	v_cmp_eq_u32_e64 s0, 0x40f, v17
	v_and_or_b32 v2, 0x1ff, v3, v2
	v_or_b32_e32 v17, 0x1000, v7
	v_or_b32_e32 v13, v19, v13
	v_med3_i32 v19, v20, 0, 13
	v_cndmask_b32_e64 v12, v12, v16, s0
	v_lshl_or_b32 v16, v18, 12, v0
	v_cmp_gt_i32_e64 s0, 1, v18
	v_lshrrev_b32_e32 v20, 8, v3
	v_bfe_u32 v21, v3, 20, 11
	v_and_or_b32 v4, 0x8000, v4, v12
	v_cndmask_b32_e64 v13, v16, v13, s0
	v_lshrrev_b32_e32 v16, v19, v17
	v_cmp_ne_u32_e64 s0, 0, v2
	v_sub_nc_u32_e32 v12, 0x3f1, v21
	v_and_b32_e32 v23, 7, v13
	v_lshlrev_b32_e32 v19, v19, v16
	v_cndmask_b32_e64 v2, 0, 1, s0
	v_lshrrev_b32_e32 v13, 2, v13
	v_med3_i32 v12, v12, 0, 13
	v_cmp_lt_i32_e64 s0, 5, v23
	v_cmp_ne_u32_e64 s1, v19, v17
	v_and_or_b32 v2, 0xffe, v20, v2
	v_add_nc_u32_e32 v20, 0xfffffc10, v22
	v_cndmask_b32_e64 v17, 0, 1, s1
	v_cmp_eq_u32_e64 s1, 3, v23
	v_or_b32_e32 v19, 0x1000, v2
	v_lshl_or_b32 v22, v20, 12, v7
	v_or_b32_e32 v16, v16, v17
	s_or_b32 s0, s1, s0
	v_lshrrev_b32_e32 v17, v12, v19
	v_add_co_ci_u32_e64 v13, s0, 0, v13, s0
	v_cmp_gt_i32_e64 s0, 1, v20
	v_lshlrev_b32_e32 v12, v12, v17
	v_cndmask_b32_e64 v16, v22, v16, s0
	v_cmp_ne_u32_e64 s0, 0, v0
	v_cndmask_b32_e64 v0, 0, 1, s0
	v_cmp_ne_u32_e64 s0, v12, v19
	v_add_nc_u32_e32 v19, 0xfffffc10, v21
	v_and_b32_e32 v21, 7, v16
	v_lshl_or_b32 v0, v0, 9, 0x7c00
	v_cndmask_b32_e64 v12, 0, 1, s0
	v_cmp_gt_i32_e64 s0, 31, v18
	v_cmp_gt_i32_e64 s2, 1, v19
	v_cmp_eq_u32_e64 s1, 3, v21
	v_or_b32_e32 v12, v17, v12
	v_lshl_or_b32 v17, v19, 12, v2
	v_cndmask_b32_e64 v13, 0x7c00, v13, s0
	v_cmp_lt_i32_e64 s0, 5, v21
	v_cndmask_b32_e64 v12, v17, v12, s2
	v_cmp_eq_u32_e64 s2, 0x40f, v18
	s_or_b32 s0, s1, s0
	v_cndmask_b32_e64 v0, v13, v0, s2
	v_lshrrev_b32_e32 v13, 2, v16
	v_and_b32_e32 v16, 7, v12
	v_lshrrev_b32_e32 v12, 2, v12
	v_cmp_gt_i32_e64 s2, 31, v20
	v_and_or_b32 v0, 0x8000, v1, v0
	v_add_co_ci_u32_e64 v13, s0, 0, v13, s0
	v_cmp_ne_u32_e64 s0, 0, v7
	v_cmp_eq_u32_e64 s1, 3, v16
	v_and_b32_e32 v1, 0xffff, v4
	v_cndmask_b32_e64 v13, 0x7c00, v13, s2
	v_cndmask_b32_e64 v7, 0, 1, s0
	v_cmp_lt_i32_e64 s0, 5, v16
	v_lshl_or_b32 v7, v7, 9, 0x7c00
	s_or_b32 s0, s1, s0
	v_add_co_ci_u32_e64 v12, s0, 0, v12, s0
	v_cmp_ne_u32_e64 s0, 0, v2
	v_cndmask_b32_e64 v2, 0, 1, s0
	v_cmp_eq_u32_e64 s0, 0x40f, v20
	v_lshl_or_b32 v2, v2, 9, 0x7c00
	v_cndmask_b32_e64 v7, v13, v7, s0
	v_cmp_gt_i32_e64 s0, 31, v19
	v_and_or_b32 v4, 0x8000, v8, v7
	v_cndmask_b32_e64 v12, 0x7c00, v12, s0
	v_cmp_eq_u32_e64 s0, 0x40f, v19
	v_lshrrev_b32_e32 v8, 16, v3
	v_cndmask_b32_e64 v7, v12, v2, s0
	v_add_co_u32 v2, s0, v5, s6
	v_add_co_ci_u32_e64 v3, s0, s7, v6, s0
	v_lshl_or_b32 v12, v0, 16, v1
	v_and_or_b32 v0, 0x8000, v8, v7
	v_and_b32_e32 v1, 0xffff, v4
	v_add_co_u32 v7, s0, v2, s8
	v_add_co_ci_u32_e64 v8, s0, s9, v3, s0
	v_lshl_or_b32 v4, v0, 16, v1
	v_add_co_u32 v0, s0, v7, s6
	v_add_co_ci_u32_e64 v1, s0, s7, v8, s0
	global_store_dword v[9:10], v15, off
	global_store_dword v[5:6], v14, off
	;; [unrolled: 1-line block ×5, first 2 shown]
	s_and_b32 exec_lo, exec_lo, vcc_lo
	s_cbranch_execz .LBB0_47
; %bb.46:
	global_load_dword v2, v[24:25], off offset:1088
	ds_read_b32 v3, v56 offset:3136
	ds_read_b32 v6, v56 offset:6496
	s_waitcnt lgkmcnt(1)
	v_lshrrev_b32_e32 v4, 16, v3
	s_waitcnt vmcnt(0)
	v_mul_f16_sdwa v5, v4, v2 dst_sel:DWORD dst_unused:UNUSED_PAD src0_sel:DWORD src1_sel:WORD_1
	v_mul_f16_sdwa v7, v3, v2 dst_sel:DWORD dst_unused:UNUSED_PAD src0_sel:DWORD src1_sel:WORD_1
	v_fmac_f16_e32 v5, v3, v2
	v_fma_f16 v2, v2, v4, -v7
	v_cvt_f32_f16_e32 v3, v5
	v_cvt_f32_f16_e32 v4, v2
	v_cvt_f64_f32_e32 v[2:3], v3
	v_cvt_f64_f32_e32 v[4:5], v4
	v_mul_f64 v[2:3], v[2:3], s[4:5]
	v_mul_f64 v[4:5], v[4:5], s[4:5]
	v_and_or_b32 v2, 0x1ff, v3, v2
	v_and_or_b32 v4, 0x1ff, v5, v4
	v_lshrrev_b32_e32 v7, 8, v3
	v_bfe_u32 v8, v3, 20, 11
	v_lshrrev_b32_e32 v9, 8, v5
	v_cmp_ne_u32_e32 vcc_lo, 0, v2
	v_bfe_u32 v10, v5, 20, 11
	v_lshrrev_b32_e32 v3, 16, v3
	v_sub_nc_u32_e32 v11, 0x3f1, v8
	v_add_nc_u32_e32 v8, 0xfffffc10, v8
	v_cndmask_b32_e64 v2, 0, 1, vcc_lo
	v_cmp_ne_u32_e32 vcc_lo, 0, v4
	v_lshrrev_b32_e32 v5, 16, v5
	v_and_or_b32 v2, 0xffe, v7, v2
	v_cndmask_b32_e64 v4, 0, 1, vcc_lo
	v_sub_nc_u32_e32 v7, 0x3f1, v10
	v_add_nc_u32_e32 v10, 0xfffffc10, v10
	v_and_or_b32 v4, 0xffe, v9, v4
	v_med3_i32 v9, v11, 0, 13
	v_or_b32_e32 v11, 0x1000, v2
	v_med3_i32 v7, v7, 0, 13
	v_or_b32_e32 v12, 0x1000, v4
	v_lshrrev_b32_e32 v13, v9, v11
	v_lshrrev_b32_e32 v14, v7, v12
	v_lshlrev_b32_e32 v9, v9, v13
	v_lshlrev_b32_e32 v7, v7, v14
	v_cmp_ne_u32_e32 vcc_lo, v9, v11
	v_lshl_or_b32 v11, v8, 12, v2
	v_cndmask_b32_e64 v9, 0, 1, vcc_lo
	v_cmp_ne_u32_e32 vcc_lo, v7, v12
	v_lshl_or_b32 v12, v10, 12, v4
	v_or_b32_e32 v9, v13, v9
	v_cndmask_b32_e64 v7, 0, 1, vcc_lo
	v_cmp_gt_i32_e32 vcc_lo, 1, v8
	v_or_b32_e32 v7, v14, v7
	v_cndmask_b32_e32 v9, v11, v9, vcc_lo
	v_cmp_gt_i32_e32 vcc_lo, 1, v10
	v_and_b32_e32 v11, 7, v9
	v_cndmask_b32_e32 v7, v12, v7, vcc_lo
	v_cmp_ne_u32_e32 vcc_lo, 0, v2
	v_lshrrev_b32_e32 v9, 2, v9
	v_cmp_eq_u32_e64 s0, 3, v11
	v_and_b32_e32 v12, 7, v7
	v_cndmask_b32_e64 v2, 0, 1, vcc_lo
	v_cmp_ne_u32_e32 vcc_lo, 0, v4
	v_lshrrev_b32_e32 v7, 2, v7
	v_cmp_lt_i32_e64 s1, 5, v12
	v_cmp_eq_u32_e64 s2, 3, v12
	v_cndmask_b32_e64 v4, 0, 1, vcc_lo
	v_cmp_lt_i32_e32 vcc_lo, 5, v11
	v_lshl_or_b32 v2, v2, 9, 0x7c00
	v_lshl_or_b32 v4, v4, 9, 0x7c00
	s_or_b32 vcc_lo, s0, vcc_lo
	v_add_co_ci_u32_e32 v9, vcc_lo, 0, v9, vcc_lo
	s_or_b32 vcc_lo, s2, s1
	v_add_co_ci_u32_e32 v7, vcc_lo, 0, v7, vcc_lo
	v_cmp_gt_i32_e32 vcc_lo, 31, v8
	v_cndmask_b32_e32 v9, 0x7c00, v9, vcc_lo
	v_cmp_gt_i32_e32 vcc_lo, 31, v10
	v_cndmask_b32_e32 v7, 0x7c00, v7, vcc_lo
	v_cmp_eq_u32_e32 vcc_lo, 0x40f, v8
	v_cndmask_b32_e32 v2, v9, v2, vcc_lo
	v_cmp_eq_u32_e32 vcc_lo, 0x40f, v10
	v_and_or_b32 v2, 0x8000, v3, v2
	v_cndmask_b32_e32 v4, v7, v4, vcc_lo
	v_add_co_u32 v0, vcc_lo, v0, s8
	v_add_co_ci_u32_e32 v1, vcc_lo, s9, v1, vcc_lo
	v_and_or_b32 v3, 0x8000, v5, v4
	v_and_b32_e32 v2, 0xffff, v2
	v_lshl_or_b32 v2, v3, 16, v2
	s_waitcnt lgkmcnt(0)
	v_lshrrev_b32_e32 v3, 16, v6
	global_store_dword v[0:1], v2, off
	global_load_dword v2, v[27:28], off offset:352
	s_waitcnt vmcnt(0)
	v_mul_f16_sdwa v4, v3, v2 dst_sel:DWORD dst_unused:UNUSED_PAD src0_sel:DWORD src1_sel:WORD_1
	v_mul_f16_sdwa v5, v6, v2 dst_sel:DWORD dst_unused:UNUSED_PAD src0_sel:DWORD src1_sel:WORD_1
	v_fmac_f16_e32 v4, v6, v2
	v_fma_f16 v2, v2, v3, -v5
	v_cvt_f32_f16_e32 v3, v4
	v_cvt_f32_f16_e32 v4, v2
	v_cvt_f64_f32_e32 v[2:3], v3
	v_cvt_f64_f32_e32 v[4:5], v4
	v_mul_f64 v[2:3], v[2:3], s[4:5]
	v_mul_f64 v[4:5], v[4:5], s[4:5]
	v_and_or_b32 v2, 0x1ff, v3, v2
	v_and_or_b32 v4, 0x1ff, v5, v4
	v_lshrrev_b32_e32 v6, 8, v3
	v_bfe_u32 v7, v3, 20, 11
	v_lshrrev_b32_e32 v8, 8, v5
	v_cmp_ne_u32_e32 vcc_lo, 0, v2
	v_bfe_u32 v9, v5, 20, 11
	v_lshrrev_b32_e32 v3, 16, v3
	v_sub_nc_u32_e32 v10, 0x3f1, v7
	v_add_nc_u32_e32 v7, 0xfffffc10, v7
	v_cndmask_b32_e64 v2, 0, 1, vcc_lo
	v_cmp_ne_u32_e32 vcc_lo, 0, v4
	v_lshrrev_b32_e32 v5, 16, v5
	v_and_or_b32 v2, 0xffe, v6, v2
	v_cndmask_b32_e64 v4, 0, 1, vcc_lo
	v_sub_nc_u32_e32 v6, 0x3f1, v9
	v_add_nc_u32_e32 v9, 0xfffffc10, v9
	v_and_or_b32 v4, 0xffe, v8, v4
	v_med3_i32 v8, v10, 0, 13
	v_or_b32_e32 v10, 0x1000, v2
	v_med3_i32 v6, v6, 0, 13
	v_or_b32_e32 v11, 0x1000, v4
	v_lshrrev_b32_e32 v12, v8, v10
	v_lshrrev_b32_e32 v13, v6, v11
	v_lshlrev_b32_e32 v8, v8, v12
	v_lshlrev_b32_e32 v6, v6, v13
	v_cmp_ne_u32_e32 vcc_lo, v8, v10
	v_lshl_or_b32 v10, v7, 12, v2
	v_cndmask_b32_e64 v8, 0, 1, vcc_lo
	v_cmp_ne_u32_e32 vcc_lo, v6, v11
	v_lshl_or_b32 v11, v9, 12, v4
	v_or_b32_e32 v8, v12, v8
	v_cndmask_b32_e64 v6, 0, 1, vcc_lo
	v_cmp_gt_i32_e32 vcc_lo, 1, v7
	v_or_b32_e32 v6, v13, v6
	v_cndmask_b32_e32 v8, v10, v8, vcc_lo
	v_cmp_gt_i32_e32 vcc_lo, 1, v9
	v_and_b32_e32 v10, 7, v8
	v_cndmask_b32_e32 v6, v11, v6, vcc_lo
	v_cmp_ne_u32_e32 vcc_lo, 0, v2
	v_lshrrev_b32_e32 v8, 2, v8
	v_cmp_eq_u32_e64 s0, 3, v10
	v_and_b32_e32 v11, 7, v6
	v_cndmask_b32_e64 v2, 0, 1, vcc_lo
	v_cmp_ne_u32_e32 vcc_lo, 0, v4
	v_lshrrev_b32_e32 v6, 2, v6
	v_cmp_lt_i32_e64 s1, 5, v11
	v_cmp_eq_u32_e64 s2, 3, v11
	v_cndmask_b32_e64 v4, 0, 1, vcc_lo
	v_cmp_lt_i32_e32 vcc_lo, 5, v10
	v_lshl_or_b32 v2, v2, 9, 0x7c00
	v_lshl_or_b32 v4, v4, 9, 0x7c00
	s_or_b32 vcc_lo, s0, vcc_lo
	v_add_co_ci_u32_e32 v8, vcc_lo, 0, v8, vcc_lo
	s_or_b32 vcc_lo, s2, s1
	v_add_co_ci_u32_e32 v6, vcc_lo, 0, v6, vcc_lo
	v_cmp_gt_i32_e32 vcc_lo, 31, v7
	v_cndmask_b32_e32 v8, 0x7c00, v8, vcc_lo
	v_cmp_gt_i32_e32 vcc_lo, 31, v9
	v_cndmask_b32_e32 v6, 0x7c00, v6, vcc_lo
	v_cmp_eq_u32_e32 vcc_lo, 0x40f, v7
	v_cndmask_b32_e32 v2, v8, v2, vcc_lo
	v_cmp_eq_u32_e32 vcc_lo, 0x40f, v9
	v_and_or_b32 v2, 0x8000, v3, v2
	v_cndmask_b32_e32 v4, v6, v4, vcc_lo
	v_add_co_u32 v0, vcc_lo, v0, s6
	v_add_co_ci_u32_e32 v1, vcc_lo, s7, v1, vcc_lo
	v_and_or_b32 v3, 0x8000, v5, v4
	v_and_b32_e32 v2, 0xffff, v2
	v_lshl_or_b32 v2, v3, 16, v2
	global_store_dword v[0:1], v2, off
.LBB0_47:
	s_endpgm
	.section	.rodata,"a",@progbits
	.p2align	6, 0x0
	.amdhsa_kernel bluestein_single_fwd_len1680_dim1_half_op_CI_CI
		.amdhsa_group_segment_fixed_size 6720
		.amdhsa_private_segment_fixed_size 0
		.amdhsa_kernarg_size 104
		.amdhsa_user_sgpr_count 6
		.amdhsa_user_sgpr_private_segment_buffer 1
		.amdhsa_user_sgpr_dispatch_ptr 0
		.amdhsa_user_sgpr_queue_ptr 0
		.amdhsa_user_sgpr_kernarg_segment_ptr 1
		.amdhsa_user_sgpr_dispatch_id 0
		.amdhsa_user_sgpr_flat_scratch_init 0
		.amdhsa_user_sgpr_private_segment_size 0
		.amdhsa_wavefront_size32 1
		.amdhsa_uses_dynamic_stack 0
		.amdhsa_system_sgpr_private_segment_wavefront_offset 0
		.amdhsa_system_sgpr_workgroup_id_x 1
		.amdhsa_system_sgpr_workgroup_id_y 0
		.amdhsa_system_sgpr_workgroup_id_z 0
		.amdhsa_system_sgpr_workgroup_info 0
		.amdhsa_system_vgpr_workitem_id 0
		.amdhsa_next_free_vgpr 195
		.amdhsa_next_free_sgpr 16
		.amdhsa_reserve_vcc 1
		.amdhsa_reserve_flat_scratch 0
		.amdhsa_float_round_mode_32 0
		.amdhsa_float_round_mode_16_64 0
		.amdhsa_float_denorm_mode_32 3
		.amdhsa_float_denorm_mode_16_64 3
		.amdhsa_dx10_clamp 1
		.amdhsa_ieee_mode 1
		.amdhsa_fp16_overflow 0
		.amdhsa_workgroup_processor_mode 1
		.amdhsa_memory_ordered 1
		.amdhsa_forward_progress 0
		.amdhsa_shared_vgpr_count 0
		.amdhsa_exception_fp_ieee_invalid_op 0
		.amdhsa_exception_fp_denorm_src 0
		.amdhsa_exception_fp_ieee_div_zero 0
		.amdhsa_exception_fp_ieee_overflow 0
		.amdhsa_exception_fp_ieee_underflow 0
		.amdhsa_exception_fp_ieee_inexact 0
		.amdhsa_exception_int_div_zero 0
	.end_amdhsa_kernel
	.text
.Lfunc_end0:
	.size	bluestein_single_fwd_len1680_dim1_half_op_CI_CI, .Lfunc_end0-bluestein_single_fwd_len1680_dim1_half_op_CI_CI
                                        ; -- End function
	.section	.AMDGPU.csdata,"",@progbits
; Kernel info:
; codeLenInByte = 30652
; NumSgprs: 18
; NumVgprs: 195
; ScratchSize: 0
; MemoryBound: 0
; FloatMode: 240
; IeeeMode: 1
; LDSByteSize: 6720 bytes/workgroup (compile time only)
; SGPRBlocks: 2
; VGPRBlocks: 24
; NumSGPRsForWavesPerEU: 18
; NumVGPRsForWavesPerEU: 195
; Occupancy: 4
; WaveLimiterHint : 1
; COMPUTE_PGM_RSRC2:SCRATCH_EN: 0
; COMPUTE_PGM_RSRC2:USER_SGPR: 6
; COMPUTE_PGM_RSRC2:TRAP_HANDLER: 0
; COMPUTE_PGM_RSRC2:TGID_X_EN: 1
; COMPUTE_PGM_RSRC2:TGID_Y_EN: 0
; COMPUTE_PGM_RSRC2:TGID_Z_EN: 0
; COMPUTE_PGM_RSRC2:TIDIG_COMP_CNT: 0
	.text
	.p2alignl 6, 3214868480
	.fill 48, 4, 3214868480
	.type	__hip_cuid_91857f1a8a4f0033,@object ; @__hip_cuid_91857f1a8a4f0033
	.section	.bss,"aw",@nobits
	.globl	__hip_cuid_91857f1a8a4f0033
__hip_cuid_91857f1a8a4f0033:
	.byte	0                               ; 0x0
	.size	__hip_cuid_91857f1a8a4f0033, 1

	.ident	"AMD clang version 19.0.0git (https://github.com/RadeonOpenCompute/llvm-project roc-6.4.0 25133 c7fe45cf4b819c5991fe208aaa96edf142730f1d)"
	.section	".note.GNU-stack","",@progbits
	.addrsig
	.addrsig_sym __hip_cuid_91857f1a8a4f0033
	.amdgpu_metadata
---
amdhsa.kernels:
  - .args:
      - .actual_access:  read_only
        .address_space:  global
        .offset:         0
        .size:           8
        .value_kind:     global_buffer
      - .actual_access:  read_only
        .address_space:  global
        .offset:         8
        .size:           8
        .value_kind:     global_buffer
      - .actual_access:  read_only
        .address_space:  global
        .offset:         16
        .size:           8
        .value_kind:     global_buffer
      - .actual_access:  read_only
        .address_space:  global
        .offset:         24
        .size:           8
        .value_kind:     global_buffer
      - .actual_access:  read_only
        .address_space:  global
        .offset:         32
        .size:           8
        .value_kind:     global_buffer
      - .offset:         40
        .size:           8
        .value_kind:     by_value
      - .address_space:  global
        .offset:         48
        .size:           8
        .value_kind:     global_buffer
      - .address_space:  global
        .offset:         56
        .size:           8
        .value_kind:     global_buffer
      - .address_space:  global
        .offset:         64
        .size:           8
        .value_kind:     global_buffer
      - .address_space:  global
        .offset:         72
        .size:           8
        .value_kind:     global_buffer
      - .offset:         80
        .size:           4
        .value_kind:     by_value
      - .address_space:  global
        .offset:         88
        .size:           8
        .value_kind:     global_buffer
      - .address_space:  global
        .offset:         96
        .size:           8
        .value_kind:     global_buffer
    .group_segment_fixed_size: 6720
    .kernarg_segment_align: 8
    .kernarg_segment_size: 104
    .language:       OpenCL C
    .language_version:
      - 2
      - 0
    .max_flat_workgroup_size: 112
    .name:           bluestein_single_fwd_len1680_dim1_half_op_CI_CI
    .private_segment_fixed_size: 0
    .sgpr_count:     18
    .sgpr_spill_count: 0
    .symbol:         bluestein_single_fwd_len1680_dim1_half_op_CI_CI.kd
    .uniform_work_group_size: 1
    .uses_dynamic_stack: false
    .vgpr_count:     195
    .vgpr_spill_count: 0
    .wavefront_size: 32
    .workgroup_processor_mode: 1
amdhsa.target:   amdgcn-amd-amdhsa--gfx1030
amdhsa.version:
  - 1
  - 2
...

	.end_amdgpu_metadata
